;; amdgpu-corpus repo=ROCm/rccl kind=compiled arch=gfx1100 opt=O3
	.text
	.amdgcn_target "amdgcn-amd-amdhsa--gfx1100"
	.amdhsa_code_object_version 6
	.p2align	2                               ; -- Begin function __ockl_fprintf_append_string_n
	.type	__ockl_fprintf_append_string_n,@function
__ockl_fprintf_append_string_n:         ; @__ockl_fprintf_append_string_n
; %bb.0:
	s_waitcnt vmcnt(0) expcnt(0) lgkmcnt(0)
	v_dual_mov_b32 v8, v3 :: v_dual_mov_b32 v7, v2
	v_or_b32_e32 v2, 2, v0
	v_cmp_eq_u32_e32 vcc_lo, 0, v6
	v_mbcnt_lo_u32_b32 v33, -1, 0
	s_mov_b32 s11, 0
	s_mov_b32 s0, exec_lo
	v_cndmask_b32_e32 v0, v2, v0, vcc_lo
	v_cmpx_ne_u64_e32 0, v[7:8]
	s_xor_b32 s10, exec_lo, s0
	s_cbranch_execz .LBB0_86
; %bb.1:
	s_load_b64 s[2:3], s[8:9], 0x50
	v_dual_mov_b32 v11, 2 :: v_dual_and_b32 v6, 2, v0
	v_mov_b32_e32 v10, 0
	v_and_b32_e32 v0, -3, v0
	v_mov_b32_e32 v12, 1
	s_mov_b32 s12, 0
	s_branch .LBB0_3
.LBB0_2:                                ;   in Loop: Header=BB0_3 Depth=1
	s_or_b32 exec_lo, exec_lo, s1
	v_sub_co_u32 v4, vcc_lo, v4, v29
	v_sub_co_ci_u32_e32 v5, vcc_lo, v5, v30, vcc_lo
	v_add_co_u32 v7, s0, v7, v29
	s_delay_alu instid0(VALU_DEP_1) | instskip(NEXT) | instid1(VALU_DEP_3)
	v_add_co_ci_u32_e64 v8, s0, v8, v30, s0
	v_cmp_eq_u64_e32 vcc_lo, 0, v[4:5]
	s_or_b32 s12, vcc_lo, s12
	s_delay_alu instid0(SALU_CYCLE_1)
	s_and_not1_b32 exec_lo, exec_lo, s12
	s_cbranch_execz .LBB0_85
.LBB0_3:                                ; =>This Loop Header: Depth=1
                                        ;     Child Loop BB0_6 Depth 2
                                        ;     Child Loop BB0_14 Depth 2
	;; [unrolled: 1-line block ×11, first 2 shown]
	v_cmp_gt_u64_e32 vcc_lo, 56, v[4:5]
	s_mov_b32 s1, exec_lo
                                        ; implicit-def: $vgpr2_vgpr3
                                        ; implicit-def: $sgpr4
	v_dual_cndmask_b32 v30, 0, v5 :: v_dual_cndmask_b32 v29, 56, v4
	v_cmpx_gt_u64_e32 8, v[4:5]
	s_xor_b32 s1, exec_lo, s1
	s_cbranch_execz .LBB0_9
; %bb.4:                                ;   in Loop: Header=BB0_3 Depth=1
	s_waitcnt vmcnt(0)
	v_mov_b32_e32 v2, 0
	v_mov_b32_e32 v3, 0
	s_mov_b64 s[4:5], 0
	s_mov_b32 s6, exec_lo
	v_cmpx_ne_u64_e32 0, v[4:5]
	s_cbranch_execz .LBB0_8
; %bb.5:                                ;   in Loop: Header=BB0_3 Depth=1
	v_lshlrev_b64 v[13:14], 3, v[29:30]
	v_dual_mov_b32 v2, 0 :: v_dual_mov_b32 v15, v8
	v_dual_mov_b32 v3, 0 :: v_dual_mov_b32 v14, v7
	s_mov_b32 s7, 0
	.p2align	6
.LBB0_6:                                ;   Parent Loop BB0_3 Depth=1
                                        ; =>  This Inner Loop Header: Depth=2
	flat_load_u8 v9, v[14:15]
	v_mov_b32_e32 v17, s11
	v_add_co_u32 v14, vcc_lo, v14, 1
	v_add_co_ci_u32_e32 v15, vcc_lo, 0, v15, vcc_lo
	s_waitcnt vmcnt(0) lgkmcnt(0)
	v_and_b32_e32 v16, 0xffff, v9
	s_delay_alu instid0(VALU_DEP_1) | instskip(SKIP_3) | instid1(VALU_DEP_2)
	v_lshlrev_b64 v[16:17], s4, v[16:17]
	s_add_u32 s4, s4, 8
	s_addc_u32 s5, s5, 0
	v_cmp_eq_u32_e64 s0, s4, v13
	v_or_b32_e32 v3, v17, v3
	s_delay_alu instid0(VALU_DEP_3) | instskip(NEXT) | instid1(VALU_DEP_3)
	v_or_b32_e32 v2, v16, v2
	s_or_b32 s7, s0, s7
	s_delay_alu instid0(SALU_CYCLE_1)
	s_and_not1_b32 exec_lo, exec_lo, s7
	s_cbranch_execnz .LBB0_6
; %bb.7:                                ;   in Loop: Header=BB0_3 Depth=1
	s_or_b32 exec_lo, exec_lo, s7
.LBB0_8:                                ;   in Loop: Header=BB0_3 Depth=1
	s_delay_alu instid0(SALU_CYCLE_1)
	s_or_b32 exec_lo, exec_lo, s6
	s_mov_b32 s4, 0
.LBB0_9:                                ;   in Loop: Header=BB0_3 Depth=1
	s_or_saveexec_b32 s0, s1
	v_dual_mov_b32 v9, s4 :: v_dual_mov_b32 v26, v8
	v_mov_b32_e32 v25, v7
	s_xor_b32 exec_lo, exec_lo, s0
	s_cbranch_execz .LBB0_11
; %bb.10:                               ;   in Loop: Header=BB0_3 Depth=1
	s_waitcnt vmcnt(0)
	flat_load_b64 v[2:3], v[7:8]
	v_add_co_u32 v25, vcc_lo, v7, 8
	v_add_co_ci_u32_e32 v26, vcc_lo, 0, v8, vcc_lo
	s_waitcnt vmcnt(0) lgkmcnt(0)
	v_and_b32_e32 v9, 0xff, v3
	v_and_b32_e32 v13, 0xff00, v3
	;; [unrolled: 1-line block ×4, first 2 shown]
	v_or3_b32 v2, v2, 0, 0
	s_delay_alu instid0(VALU_DEP_4) | instskip(SKIP_1) | instid1(VALU_DEP_2)
	v_or_b32_e32 v13, v9, v13
	v_add_nc_u32_e32 v9, -8, v29
	v_or3_b32 v3, v13, v14, v3
.LBB0_11:                               ;   in Loop: Header=BB0_3 Depth=1
	s_or_b32 exec_lo, exec_lo, s0
                                        ; implicit-def: $vgpr13_vgpr14
                                        ; implicit-def: $sgpr1
	s_delay_alu instid0(SALU_CYCLE_1) | instskip(NEXT) | instid1(VALU_DEP_2)
	s_mov_b32 s0, exec_lo
	v_cmpx_gt_u32_e32 8, v9
	s_xor_b32 s6, exec_lo, s0
	s_cbranch_execz .LBB0_17
; %bb.12:                               ;   in Loop: Header=BB0_3 Depth=1
	v_mov_b32_e32 v13, 0
	v_mov_b32_e32 v14, 0
	s_mov_b32 s7, exec_lo
	v_cmpx_ne_u32_e32 0, v9
	s_cbranch_execz .LBB0_16
; %bb.13:                               ;   in Loop: Header=BB0_3 Depth=1
	v_mov_b32_e32 v13, 0
	v_mov_b32_e32 v14, 0
	s_mov_b64 s[0:1], 0
	s_mov_b32 s13, 0
	s_mov_b64 s[4:5], 0
	.p2align	6
.LBB0_14:                               ;   Parent Loop BB0_3 Depth=1
                                        ; =>  This Inner Loop Header: Depth=2
	s_delay_alu instid0(SALU_CYCLE_1)
	v_add_co_u32 v15, vcc_lo, v25, s4
	v_add_co_ci_u32_e32 v16, vcc_lo, s5, v26, vcc_lo
	s_add_u32 s4, s4, 1
	s_addc_u32 s5, s5, 0
	v_cmp_eq_u32_e32 vcc_lo, s4, v9
	flat_load_u8 v15, v[15:16]
	s_waitcnt vmcnt(0) lgkmcnt(0)
	v_dual_mov_b32 v16, s11 :: v_dual_and_b32 v15, 0xffff, v15
	s_delay_alu instid0(VALU_DEP_1) | instskip(SKIP_3) | instid1(VALU_DEP_1)
	v_lshlrev_b64 v[15:16], s0, v[15:16]
	s_add_u32 s0, s0, 8
	s_addc_u32 s1, s1, 0
	s_or_b32 s13, vcc_lo, s13
	v_or_b32_e32 v14, v16, v14
	s_delay_alu instid0(VALU_DEP_2)
	v_or_b32_e32 v13, v15, v13
	s_and_not1_b32 exec_lo, exec_lo, s13
	s_cbranch_execnz .LBB0_14
; %bb.15:                               ;   in Loop: Header=BB0_3 Depth=1
	s_or_b32 exec_lo, exec_lo, s13
.LBB0_16:                               ;   in Loop: Header=BB0_3 Depth=1
	s_delay_alu instid0(SALU_CYCLE_1)
	s_or_b32 exec_lo, exec_lo, s7
	s_mov_b32 s1, 0
                                        ; implicit-def: $vgpr9
.LBB0_17:                               ;   in Loop: Header=BB0_3 Depth=1
	s_or_saveexec_b32 s0, s6
	v_mov_b32_e32 v17, s1
	s_xor_b32 exec_lo, exec_lo, s0
	s_cbranch_execz .LBB0_19
; %bb.18:                               ;   in Loop: Header=BB0_3 Depth=1
	flat_load_b64 v[13:14], v[25:26]
	v_add_co_u32 v25, vcc_lo, v25, 8
	v_add_nc_u32_e32 v17, -8, v9
	v_add_co_ci_u32_e32 v26, vcc_lo, 0, v26, vcc_lo
	s_waitcnt vmcnt(0) lgkmcnt(0)
	v_and_b32_e32 v15, 0xff, v14
	v_and_b32_e32 v16, 0xff00, v14
	;; [unrolled: 1-line block ×4, first 2 shown]
	v_or3_b32 v13, v13, 0, 0
	s_delay_alu instid0(VALU_DEP_4) | instskip(NEXT) | instid1(VALU_DEP_1)
	v_or_b32_e32 v15, v15, v16
	v_or3_b32 v14, v15, v18, v14
.LBB0_19:                               ;   in Loop: Header=BB0_3 Depth=1
	s_or_b32 exec_lo, exec_lo, s0
                                        ; implicit-def: $sgpr1
	s_delay_alu instid0(SALU_CYCLE_1)
	s_mov_b32 s0, exec_lo
	v_cmpx_gt_u32_e32 8, v17
	s_xor_b32 s6, exec_lo, s0
	s_cbranch_execz .LBB0_25
; %bb.20:                               ;   in Loop: Header=BB0_3 Depth=1
	v_mov_b32_e32 v15, 0
	v_mov_b32_e32 v16, 0
	s_mov_b32 s7, exec_lo
	v_cmpx_ne_u32_e32 0, v17
	s_cbranch_execz .LBB0_24
; %bb.21:                               ;   in Loop: Header=BB0_3 Depth=1
	v_mov_b32_e32 v15, 0
	v_mov_b32_e32 v16, 0
	s_mov_b64 s[0:1], 0
	s_mov_b32 s13, 0
	s_mov_b64 s[4:5], 0
	.p2align	6
.LBB0_22:                               ;   Parent Loop BB0_3 Depth=1
                                        ; =>  This Inner Loop Header: Depth=2
	s_delay_alu instid0(SALU_CYCLE_1)
	v_add_co_u32 v18, vcc_lo, v25, s4
	v_add_co_ci_u32_e32 v19, vcc_lo, s5, v26, vcc_lo
	s_add_u32 s4, s4, 1
	s_addc_u32 s5, s5, 0
	v_cmp_eq_u32_e32 vcc_lo, s4, v17
	flat_load_u8 v9, v[18:19]
	s_waitcnt vmcnt(0) lgkmcnt(0)
	v_dual_mov_b32 v19, s11 :: v_dual_and_b32 v18, 0xffff, v9
	s_delay_alu instid0(VALU_DEP_1) | instskip(SKIP_3) | instid1(VALU_DEP_1)
	v_lshlrev_b64 v[18:19], s0, v[18:19]
	s_add_u32 s0, s0, 8
	s_addc_u32 s1, s1, 0
	s_or_b32 s13, vcc_lo, s13
	v_or_b32_e32 v16, v19, v16
	s_delay_alu instid0(VALU_DEP_2)
	v_or_b32_e32 v15, v18, v15
	s_and_not1_b32 exec_lo, exec_lo, s13
	s_cbranch_execnz .LBB0_22
; %bb.23:                               ;   in Loop: Header=BB0_3 Depth=1
	s_or_b32 exec_lo, exec_lo, s13
.LBB0_24:                               ;   in Loop: Header=BB0_3 Depth=1
	s_delay_alu instid0(SALU_CYCLE_1)
	s_or_b32 exec_lo, exec_lo, s7
	s_mov_b32 s1, 0
                                        ; implicit-def: $vgpr17
.LBB0_25:                               ;   in Loop: Header=BB0_3 Depth=1
	s_or_saveexec_b32 s0, s6
	v_mov_b32_e32 v9, s1
	s_xor_b32 exec_lo, exec_lo, s0
	s_cbranch_execz .LBB0_27
; %bb.26:                               ;   in Loop: Header=BB0_3 Depth=1
	flat_load_b64 v[15:16], v[25:26]
	v_add_co_u32 v25, vcc_lo, v25, 8
	v_add_co_ci_u32_e32 v26, vcc_lo, 0, v26, vcc_lo
	s_waitcnt vmcnt(0) lgkmcnt(0)
	v_and_b32_e32 v9, 0xff, v16
	v_and_b32_e32 v18, 0xff00, v16
	;; [unrolled: 1-line block ×4, first 2 shown]
	v_or3_b32 v15, v15, 0, 0
	s_delay_alu instid0(VALU_DEP_4) | instskip(SKIP_1) | instid1(VALU_DEP_2)
	v_or_b32_e32 v18, v9, v18
	v_add_nc_u32_e32 v9, -8, v17
	v_or3_b32 v16, v18, v19, v16
.LBB0_27:                               ;   in Loop: Header=BB0_3 Depth=1
	s_or_b32 exec_lo, exec_lo, s0
                                        ; implicit-def: $vgpr17_vgpr18
                                        ; implicit-def: $sgpr1
	s_delay_alu instid0(SALU_CYCLE_1) | instskip(NEXT) | instid1(VALU_DEP_1)
	s_mov_b32 s0, exec_lo
	v_cmpx_gt_u32_e32 8, v9
	s_xor_b32 s6, exec_lo, s0
	s_cbranch_execz .LBB0_33
; %bb.28:                               ;   in Loop: Header=BB0_3 Depth=1
	v_mov_b32_e32 v17, 0
	v_mov_b32_e32 v18, 0
	s_mov_b32 s7, exec_lo
	v_cmpx_ne_u32_e32 0, v9
	s_cbranch_execz .LBB0_32
; %bb.29:                               ;   in Loop: Header=BB0_3 Depth=1
	v_mov_b32_e32 v17, 0
	v_mov_b32_e32 v18, 0
	s_mov_b64 s[0:1], 0
	s_mov_b32 s13, 0
	s_mov_b64 s[4:5], 0
	.p2align	6
.LBB0_30:                               ;   Parent Loop BB0_3 Depth=1
                                        ; =>  This Inner Loop Header: Depth=2
	s_delay_alu instid0(SALU_CYCLE_1)
	v_add_co_u32 v19, vcc_lo, v25, s4
	v_add_co_ci_u32_e32 v20, vcc_lo, s5, v26, vcc_lo
	s_add_u32 s4, s4, 1
	s_addc_u32 s5, s5, 0
	v_cmp_eq_u32_e32 vcc_lo, s4, v9
	flat_load_u8 v19, v[19:20]
	s_waitcnt vmcnt(0) lgkmcnt(0)
	v_dual_mov_b32 v20, s11 :: v_dual_and_b32 v19, 0xffff, v19
	s_delay_alu instid0(VALU_DEP_1) | instskip(SKIP_3) | instid1(VALU_DEP_1)
	v_lshlrev_b64 v[19:20], s0, v[19:20]
	s_add_u32 s0, s0, 8
	s_addc_u32 s1, s1, 0
	s_or_b32 s13, vcc_lo, s13
	v_or_b32_e32 v18, v20, v18
	s_delay_alu instid0(VALU_DEP_2)
	v_or_b32_e32 v17, v19, v17
	s_and_not1_b32 exec_lo, exec_lo, s13
	s_cbranch_execnz .LBB0_30
; %bb.31:                               ;   in Loop: Header=BB0_3 Depth=1
	s_or_b32 exec_lo, exec_lo, s13
.LBB0_32:                               ;   in Loop: Header=BB0_3 Depth=1
	s_delay_alu instid0(SALU_CYCLE_1)
	s_or_b32 exec_lo, exec_lo, s7
	s_mov_b32 s1, 0
                                        ; implicit-def: $vgpr9
.LBB0_33:                               ;   in Loop: Header=BB0_3 Depth=1
	s_or_saveexec_b32 s0, s6
	v_mov_b32_e32 v21, s1
	s_xor_b32 exec_lo, exec_lo, s0
	s_cbranch_execz .LBB0_35
; %bb.34:                               ;   in Loop: Header=BB0_3 Depth=1
	flat_load_b64 v[17:18], v[25:26]
	v_add_co_u32 v25, vcc_lo, v25, 8
	v_add_nc_u32_e32 v21, -8, v9
	v_add_co_ci_u32_e32 v26, vcc_lo, 0, v26, vcc_lo
	s_waitcnt vmcnt(0) lgkmcnt(0)
	v_and_b32_e32 v19, 0xff, v18
	v_and_b32_e32 v20, 0xff00, v18
	;; [unrolled: 1-line block ×4, first 2 shown]
	v_or3_b32 v17, v17, 0, 0
	s_delay_alu instid0(VALU_DEP_4) | instskip(NEXT) | instid1(VALU_DEP_1)
	v_or_b32_e32 v19, v19, v20
	v_or3_b32 v18, v19, v22, v18
.LBB0_35:                               ;   in Loop: Header=BB0_3 Depth=1
	s_or_b32 exec_lo, exec_lo, s0
                                        ; implicit-def: $sgpr1
	s_delay_alu instid0(SALU_CYCLE_1)
	s_mov_b32 s0, exec_lo
	v_cmpx_gt_u32_e32 8, v21
	s_xor_b32 s6, exec_lo, s0
	s_cbranch_execz .LBB0_41
; %bb.36:                               ;   in Loop: Header=BB0_3 Depth=1
	v_mov_b32_e32 v19, 0
	v_mov_b32_e32 v20, 0
	s_mov_b32 s7, exec_lo
	v_cmpx_ne_u32_e32 0, v21
	s_cbranch_execz .LBB0_40
; %bb.37:                               ;   in Loop: Header=BB0_3 Depth=1
	v_mov_b32_e32 v19, 0
	v_mov_b32_e32 v20, 0
	s_mov_b64 s[0:1], 0
	s_mov_b32 s13, 0
	s_mov_b64 s[4:5], 0
	.p2align	6
.LBB0_38:                               ;   Parent Loop BB0_3 Depth=1
                                        ; =>  This Inner Loop Header: Depth=2
	s_delay_alu instid0(SALU_CYCLE_1)
	v_add_co_u32 v22, vcc_lo, v25, s4
	v_add_co_ci_u32_e32 v23, vcc_lo, s5, v26, vcc_lo
	s_add_u32 s4, s4, 1
	s_addc_u32 s5, s5, 0
	v_cmp_eq_u32_e32 vcc_lo, s4, v21
	flat_load_u8 v9, v[22:23]
	s_waitcnt vmcnt(0) lgkmcnt(0)
	v_dual_mov_b32 v23, s11 :: v_dual_and_b32 v22, 0xffff, v9
	s_delay_alu instid0(VALU_DEP_1) | instskip(SKIP_3) | instid1(VALU_DEP_1)
	v_lshlrev_b64 v[22:23], s0, v[22:23]
	s_add_u32 s0, s0, 8
	s_addc_u32 s1, s1, 0
	s_or_b32 s13, vcc_lo, s13
	v_or_b32_e32 v20, v23, v20
	s_delay_alu instid0(VALU_DEP_2)
	v_or_b32_e32 v19, v22, v19
	s_and_not1_b32 exec_lo, exec_lo, s13
	s_cbranch_execnz .LBB0_38
; %bb.39:                               ;   in Loop: Header=BB0_3 Depth=1
	s_or_b32 exec_lo, exec_lo, s13
.LBB0_40:                               ;   in Loop: Header=BB0_3 Depth=1
	s_delay_alu instid0(SALU_CYCLE_1)
	s_or_b32 exec_lo, exec_lo, s7
	s_mov_b32 s1, 0
                                        ; implicit-def: $vgpr21
.LBB0_41:                               ;   in Loop: Header=BB0_3 Depth=1
	s_or_saveexec_b32 s0, s6
	v_mov_b32_e32 v9, s1
	s_xor_b32 exec_lo, exec_lo, s0
	s_cbranch_execz .LBB0_43
; %bb.42:                               ;   in Loop: Header=BB0_3 Depth=1
	flat_load_b64 v[19:20], v[25:26]
	v_add_co_u32 v25, vcc_lo, v25, 8
	v_add_co_ci_u32_e32 v26, vcc_lo, 0, v26, vcc_lo
	s_waitcnt vmcnt(0) lgkmcnt(0)
	v_and_b32_e32 v9, 0xff, v20
	v_and_b32_e32 v22, 0xff00, v20
	;; [unrolled: 1-line block ×4, first 2 shown]
	v_or3_b32 v19, v19, 0, 0
	s_delay_alu instid0(VALU_DEP_4) | instskip(SKIP_1) | instid1(VALU_DEP_2)
	v_or_b32_e32 v22, v9, v22
	v_add_nc_u32_e32 v9, -8, v21
	v_or3_b32 v20, v22, v23, v20
.LBB0_43:                               ;   in Loop: Header=BB0_3 Depth=1
	s_or_b32 exec_lo, exec_lo, s0
                                        ; implicit-def: $vgpr21_vgpr22
                                        ; implicit-def: $sgpr1
	s_delay_alu instid0(SALU_CYCLE_1) | instskip(NEXT) | instid1(VALU_DEP_1)
	s_mov_b32 s0, exec_lo
	v_cmpx_gt_u32_e32 8, v9
	s_xor_b32 s6, exec_lo, s0
	s_cbranch_execz .LBB0_49
; %bb.44:                               ;   in Loop: Header=BB0_3 Depth=1
	v_mov_b32_e32 v21, 0
	v_mov_b32_e32 v22, 0
	s_mov_b32 s7, exec_lo
	v_cmpx_ne_u32_e32 0, v9
	s_cbranch_execz .LBB0_48
; %bb.45:                               ;   in Loop: Header=BB0_3 Depth=1
	v_mov_b32_e32 v21, 0
	v_mov_b32_e32 v22, 0
	s_mov_b64 s[0:1], 0
	s_mov_b32 s13, 0
	s_mov_b64 s[4:5], 0
	.p2align	6
.LBB0_46:                               ;   Parent Loop BB0_3 Depth=1
                                        ; =>  This Inner Loop Header: Depth=2
	s_delay_alu instid0(SALU_CYCLE_1)
	v_add_co_u32 v23, vcc_lo, v25, s4
	v_add_co_ci_u32_e32 v24, vcc_lo, s5, v26, vcc_lo
	s_add_u32 s4, s4, 1
	s_addc_u32 s5, s5, 0
	v_cmp_eq_u32_e32 vcc_lo, s4, v9
	flat_load_u8 v23, v[23:24]
	s_waitcnt vmcnt(0) lgkmcnt(0)
	v_dual_mov_b32 v24, s11 :: v_dual_and_b32 v23, 0xffff, v23
	s_delay_alu instid0(VALU_DEP_1) | instskip(SKIP_3) | instid1(VALU_DEP_1)
	v_lshlrev_b64 v[23:24], s0, v[23:24]
	s_add_u32 s0, s0, 8
	s_addc_u32 s1, s1, 0
	s_or_b32 s13, vcc_lo, s13
	v_or_b32_e32 v22, v24, v22
	s_delay_alu instid0(VALU_DEP_2)
	v_or_b32_e32 v21, v23, v21
	s_and_not1_b32 exec_lo, exec_lo, s13
	s_cbranch_execnz .LBB0_46
; %bb.47:                               ;   in Loop: Header=BB0_3 Depth=1
	s_or_b32 exec_lo, exec_lo, s13
.LBB0_48:                               ;   in Loop: Header=BB0_3 Depth=1
	s_delay_alu instid0(SALU_CYCLE_1)
	s_or_b32 exec_lo, exec_lo, s7
	s_mov_b32 s1, 0
                                        ; implicit-def: $vgpr9
.LBB0_49:                               ;   in Loop: Header=BB0_3 Depth=1
	s_or_saveexec_b32 s0, s6
	v_mov_b32_e32 v27, s1
	s_xor_b32 exec_lo, exec_lo, s0
	s_cbranch_execz .LBB0_51
; %bb.50:                               ;   in Loop: Header=BB0_3 Depth=1
	flat_load_b64 v[21:22], v[25:26]
	v_add_co_u32 v25, vcc_lo, v25, 8
	v_add_nc_u32_e32 v27, -8, v9
	v_add_co_ci_u32_e32 v26, vcc_lo, 0, v26, vcc_lo
	s_waitcnt vmcnt(0) lgkmcnt(0)
	v_and_b32_e32 v23, 0xff, v22
	v_and_b32_e32 v24, 0xff00, v22
	;; [unrolled: 1-line block ×4, first 2 shown]
	v_or3_b32 v21, v21, 0, 0
	s_delay_alu instid0(VALU_DEP_4) | instskip(NEXT) | instid1(VALU_DEP_1)
	v_or_b32_e32 v23, v23, v24
	v_or3_b32 v22, v23, v28, v22
.LBB0_51:                               ;   in Loop: Header=BB0_3 Depth=1
	s_or_b32 exec_lo, exec_lo, s0
	s_delay_alu instid0(SALU_CYCLE_1)
	s_mov_b32 s0, exec_lo
	v_cmpx_gt_u32_e32 8, v27
	s_xor_b32 s4, exec_lo, s0
	s_cbranch_execz .LBB0_57
; %bb.52:                               ;   in Loop: Header=BB0_3 Depth=1
	v_mov_b32_e32 v23, 0
	v_mov_b32_e32 v24, 0
	s_mov_b32 s5, exec_lo
	v_cmpx_ne_u32_e32 0, v27
	s_cbranch_execz .LBB0_56
; %bb.53:                               ;   in Loop: Header=BB0_3 Depth=1
	v_mov_b32_e32 v23, 0
	v_mov_b32_e32 v24, 0
	s_mov_b64 s[0:1], 0
	s_mov_b32 s6, 0
	.p2align	6
.LBB0_54:                               ;   Parent Loop BB0_3 Depth=1
                                        ; =>  This Inner Loop Header: Depth=2
	flat_load_u8 v9, v[25:26]
	v_dual_mov_b32 v32, s11 :: v_dual_add_nc_u32 v27, -1, v27
	v_add_co_u32 v25, vcc_lo, v25, 1
	v_add_co_ci_u32_e32 v26, vcc_lo, 0, v26, vcc_lo
	s_delay_alu instid0(VALU_DEP_3) | instskip(SKIP_2) | instid1(VALU_DEP_1)
	v_cmp_eq_u32_e32 vcc_lo, 0, v27
	s_waitcnt vmcnt(0) lgkmcnt(0)
	v_and_b32_e32 v31, 0xffff, v9
	v_lshlrev_b64 v[31:32], s0, v[31:32]
	s_add_u32 s0, s0, 8
	s_addc_u32 s1, s1, 0
	s_or_b32 s6, vcc_lo, s6
	s_delay_alu instid0(VALU_DEP_1) | instskip(NEXT) | instid1(VALU_DEP_2)
	v_or_b32_e32 v24, v32, v24
	v_or_b32_e32 v23, v31, v23
	s_and_not1_b32 exec_lo, exec_lo, s6
	s_cbranch_execnz .LBB0_54
; %bb.55:                               ;   in Loop: Header=BB0_3 Depth=1
	s_or_b32 exec_lo, exec_lo, s6
.LBB0_56:                               ;   in Loop: Header=BB0_3 Depth=1
	s_delay_alu instid0(SALU_CYCLE_1)
	s_or_b32 exec_lo, exec_lo, s5
                                        ; implicit-def: $vgpr25_vgpr26
.LBB0_57:                               ;   in Loop: Header=BB0_3 Depth=1
	s_and_not1_saveexec_b32 s0, s4
	s_cbranch_execz .LBB0_59
; %bb.58:                               ;   in Loop: Header=BB0_3 Depth=1
	flat_load_b64 v[23:24], v[25:26]
	s_waitcnt vmcnt(0) lgkmcnt(0)
	v_and_b32_e32 v9, 0xff, v24
	v_and_b32_e32 v25, 0xff00, v24
	;; [unrolled: 1-line block ×4, first 2 shown]
	v_or3_b32 v23, v23, 0, 0
	s_delay_alu instid0(VALU_DEP_4) | instskip(NEXT) | instid1(VALU_DEP_1)
	v_or_b32_e32 v9, v9, v25
	v_or3_b32 v24, v9, v26, v24
.LBB0_59:                               ;   in Loop: Header=BB0_3 Depth=1
	s_or_b32 exec_lo, exec_lo, s0
	v_readfirstlane_b32 s0, v33
	v_mov_b32_e32 v31, 0
	v_mov_b32_e32 v32, 0
	s_delay_alu instid0(VALU_DEP_3) | instskip(NEXT) | instid1(VALU_DEP_1)
	v_cmp_eq_u32_e64 s0, s0, v33
	s_and_saveexec_b32 s1, s0
	s_cbranch_execz .LBB0_65
; %bb.60:                               ;   in Loop: Header=BB0_3 Depth=1
	s_waitcnt lgkmcnt(0)
	global_load_b64 v[27:28], v10, s[2:3] offset:24 glc
	s_waitcnt vmcnt(0)
	buffer_gl1_inv
	buffer_gl0_inv
	s_clause 0x1
	global_load_b64 v[25:26], v10, s[2:3] offset:40
	global_load_b64 v[31:32], v10, s[2:3]
	s_mov_b32 s4, exec_lo
	s_waitcnt vmcnt(1)
	v_and_b32_e32 v9, v26, v28
	v_and_b32_e32 v25, v25, v27
	s_delay_alu instid0(VALU_DEP_2) | instskip(NEXT) | instid1(VALU_DEP_2)
	v_mul_lo_u32 v9, v9, 24
	v_mul_hi_u32 v26, v25, 24
	v_mul_lo_u32 v25, v25, 24
	s_delay_alu instid0(VALU_DEP_2) | instskip(SKIP_1) | instid1(VALU_DEP_2)
	v_add_nc_u32_e32 v9, v26, v9
	s_waitcnt vmcnt(0)
	v_add_co_u32 v25, vcc_lo, v31, v25
	s_delay_alu instid0(VALU_DEP_2)
	v_add_co_ci_u32_e32 v26, vcc_lo, v32, v9, vcc_lo
	global_load_b64 v[25:26], v[25:26], off glc
	s_waitcnt vmcnt(0)
	global_atomic_cmpswap_b64 v[31:32], v10, v[25:28], s[2:3] offset:24 glc
	s_waitcnt vmcnt(0)
	buffer_gl1_inv
	buffer_gl0_inv
	v_cmpx_ne_u64_e64 v[31:32], v[27:28]
	s_cbranch_execz .LBB0_64
; %bb.61:                               ;   in Loop: Header=BB0_3 Depth=1
	s_mov_b32 s5, 0
	.p2align	6
.LBB0_62:                               ;   Parent Loop BB0_3 Depth=1
                                        ; =>  This Inner Loop Header: Depth=2
	s_sleep 1
	s_clause 0x1
	global_load_b64 v[25:26], v10, s[2:3] offset:40
	global_load_b64 v[34:35], v10, s[2:3]
	v_dual_mov_b32 v27, v31 :: v_dual_mov_b32 v28, v32
	s_waitcnt vmcnt(1)
	s_delay_alu instid0(VALU_DEP_1) | instskip(SKIP_1) | instid1(VALU_DEP_1)
	v_and_b32_e32 v9, v25, v27
	s_waitcnt vmcnt(0)
	v_mad_u64_u32 v[31:32], null, v9, 24, v[34:35]
	s_delay_alu instid0(VALU_DEP_1) | instskip(NEXT) | instid1(VALU_DEP_1)
	v_dual_mov_b32 v9, v32 :: v_dual_and_b32 v34, v26, v28
	v_mad_u64_u32 v[25:26], null, v34, 24, v[9:10]
	s_delay_alu instid0(VALU_DEP_1)
	v_mov_b32_e32 v32, v25
	global_load_b64 v[25:26], v[31:32], off glc
	s_waitcnt vmcnt(0)
	global_atomic_cmpswap_b64 v[31:32], v10, v[25:28], s[2:3] offset:24 glc
	s_waitcnt vmcnt(0)
	buffer_gl1_inv
	buffer_gl0_inv
	v_cmp_eq_u64_e32 vcc_lo, v[31:32], v[27:28]
	s_or_b32 s5, vcc_lo, s5
	s_delay_alu instid0(SALU_CYCLE_1)
	s_and_not1_b32 exec_lo, exec_lo, s5
	s_cbranch_execnz .LBB0_62
; %bb.63:                               ;   in Loop: Header=BB0_3 Depth=1
	s_or_b32 exec_lo, exec_lo, s5
.LBB0_64:                               ;   in Loop: Header=BB0_3 Depth=1
	s_delay_alu instid0(SALU_CYCLE_1)
	s_or_b32 exec_lo, exec_lo, s4
.LBB0_65:                               ;   in Loop: Header=BB0_3 Depth=1
	s_delay_alu instid0(SALU_CYCLE_1)
	s_or_b32 exec_lo, exec_lo, s1
	s_waitcnt lgkmcnt(0)
	s_clause 0x1
	global_load_b64 v[34:35], v10, s[2:3] offset:40
	global_load_b128 v[25:28], v10, s[2:3]
	v_readfirstlane_b32 s4, v31
	v_readfirstlane_b32 s5, v32
	s_mov_b32 s1, exec_lo
	s_waitcnt vmcnt(1)
	v_readfirstlane_b32 s6, v34
	v_readfirstlane_b32 s7, v35
	s_delay_alu instid0(VALU_DEP_1) | instskip(NEXT) | instid1(SALU_CYCLE_1)
	s_and_b64 s[6:7], s[4:5], s[6:7]
	s_mul_i32 s13, s7, 24
	s_mul_hi_u32 s14, s6, 24
	s_mul_i32 s15, s6, 24
	s_add_i32 s14, s14, s13
	s_waitcnt vmcnt(0)
	v_add_co_u32 v31, vcc_lo, v25, s15
	v_add_co_ci_u32_e32 v32, vcc_lo, s14, v26, vcc_lo
	s_and_saveexec_b32 s13, s0
	s_cbranch_execz .LBB0_67
; %bb.66:                               ;   in Loop: Header=BB0_3 Depth=1
	v_mov_b32_e32 v9, s1
	global_store_b128 v[31:32], v[9:12], off offset:8
.LBB0_67:                               ;   in Loop: Header=BB0_3 Depth=1
	s_or_b32 exec_lo, exec_lo, s13
	v_cmp_lt_u64_e32 vcc_lo, 56, v[4:5]
	v_or_b32_e32 v9, 0, v1
	v_or_b32_e32 v34, v0, v6
	v_lshl_add_u32 v35, v29, 2, 28
	s_lshl_b64 s[6:7], s[6:7], 12
	s_delay_alu instid0(SALU_CYCLE_1) | instskip(NEXT) | instid1(VALU_DEP_1)
	v_add_co_u32 v27, s1, v27, s6
	v_add_co_ci_u32_e64 v28, s1, s7, v28, s1
	v_dual_cndmask_b32 v1, v9, v1 :: v_dual_cndmask_b32 v0, v34, v0
	v_and_b32_e32 v9, 0x1e0, v35
	v_lshlrev_b32_e32 v34, 6, v33
	v_readfirstlane_b32 s6, v27
	v_readfirstlane_b32 s7, v28
	s_delay_alu instid0(VALU_DEP_4)
	v_and_or_b32 v0, 0xffffff1f, v0, v9
	s_clause 0x3
	global_store_b128 v34, v[0:3], s[6:7]
	global_store_b128 v34, v[13:16], s[6:7] offset:16
	global_store_b128 v34, v[17:20], s[6:7] offset:32
	;; [unrolled: 1-line block ×3, first 2 shown]
	s_and_saveexec_b32 s1, s0
	s_cbranch_execz .LBB0_75
; %bb.68:                               ;   in Loop: Header=BB0_3 Depth=1
	s_clause 0x1
	global_load_b64 v[17:18], v10, s[2:3] offset:32 glc
	global_load_b64 v[0:1], v10, s[2:3] offset:40
	v_dual_mov_b32 v15, s4 :: v_dual_mov_b32 v16, s5
	s_waitcnt vmcnt(0)
	v_readfirstlane_b32 s6, v0
	v_readfirstlane_b32 s7, v1
	s_delay_alu instid0(VALU_DEP_1) | instskip(NEXT) | instid1(SALU_CYCLE_1)
	s_and_b64 s[6:7], s[6:7], s[4:5]
	s_mul_i32 s7, s7, 24
	s_mul_hi_u32 s13, s6, 24
	s_mul_i32 s6, s6, 24
	s_add_i32 s13, s13, s7
	v_add_co_u32 v13, vcc_lo, v25, s6
	v_add_co_ci_u32_e32 v14, vcc_lo, s13, v26, vcc_lo
	s_mov_b32 s6, exec_lo
	global_store_b64 v[13:14], v[17:18], off
	s_waitcnt_vscnt null, 0x0
	global_atomic_cmpswap_b64 v[2:3], v10, v[15:18], s[2:3] offset:32 glc
	s_waitcnt vmcnt(0)
	v_cmpx_ne_u64_e64 v[2:3], v[17:18]
	s_cbranch_execz .LBB0_71
; %bb.69:                               ;   in Loop: Header=BB0_3 Depth=1
	s_mov_b32 s7, 0
.LBB0_70:                               ;   Parent Loop BB0_3 Depth=1
                                        ; =>  This Inner Loop Header: Depth=2
	v_dual_mov_b32 v0, s4 :: v_dual_mov_b32 v1, s5
	s_sleep 1
	global_store_b64 v[13:14], v[2:3], off
	s_waitcnt_vscnt null, 0x0
	global_atomic_cmpswap_b64 v[0:1], v10, v[0:3], s[2:3] offset:32 glc
	s_waitcnt vmcnt(0)
	v_cmp_eq_u64_e32 vcc_lo, v[0:1], v[2:3]
	v_dual_mov_b32 v3, v1 :: v_dual_mov_b32 v2, v0
	s_or_b32 s7, vcc_lo, s7
	s_delay_alu instid0(SALU_CYCLE_1)
	s_and_not1_b32 exec_lo, exec_lo, s7
	s_cbranch_execnz .LBB0_70
.LBB0_71:                               ;   in Loop: Header=BB0_3 Depth=1
	s_or_b32 exec_lo, exec_lo, s6
	global_load_b64 v[0:1], v10, s[2:3] offset:16
	s_mov_b32 s7, exec_lo
	s_mov_b32 s6, exec_lo
	v_mbcnt_lo_u32_b32 v2, s7, 0
	s_delay_alu instid0(VALU_DEP_1)
	v_cmpx_eq_u32_e32 0, v2
	s_cbranch_execz .LBB0_73
; %bb.72:                               ;   in Loop: Header=BB0_3 Depth=1
	s_bcnt1_i32_b32 s7, s7
	s_delay_alu instid0(SALU_CYCLE_1)
	v_mov_b32_e32 v9, s7
	s_waitcnt vmcnt(0)
	global_atomic_add_u64 v[0:1], v[9:10], off offset:8
.LBB0_73:                               ;   in Loop: Header=BB0_3 Depth=1
	s_or_b32 exec_lo, exec_lo, s6
	s_waitcnt vmcnt(0)
	global_load_b64 v[2:3], v[0:1], off offset:16
	s_waitcnt vmcnt(0)
	v_cmp_eq_u64_e32 vcc_lo, 0, v[2:3]
	s_cbranch_vccnz .LBB0_75
; %bb.74:                               ;   in Loop: Header=BB0_3 Depth=1
	global_load_b32 v9, v[0:1], off offset:24
	s_waitcnt vmcnt(0)
	v_and_b32_e32 v0, 0xffffff, v9
	s_waitcnt_vscnt null, 0x0
	global_store_b64 v[2:3], v[9:10], off
	v_readfirstlane_b32 m0, v0
	s_sendmsg sendmsg(MSG_INTERRUPT)
.LBB0_75:                               ;   in Loop: Header=BB0_3 Depth=1
	s_or_b32 exec_lo, exec_lo, s1
	v_add_co_u32 v0, vcc_lo, v27, v34
	v_add_co_ci_u32_e32 v1, vcc_lo, 0, v28, vcc_lo
	s_branch .LBB0_79
	.p2align	6
.LBB0_76:                               ;   in Loop: Header=BB0_79 Depth=2
	s_or_b32 exec_lo, exec_lo, s1
	s_delay_alu instid0(VALU_DEP_1) | instskip(NEXT) | instid1(VALU_DEP_1)
	v_readfirstlane_b32 s1, v2
	s_cmp_eq_u32 s1, 0
	s_cbranch_scc1 .LBB0_78
; %bb.77:                               ;   in Loop: Header=BB0_79 Depth=2
	s_sleep 1
	s_cbranch_execnz .LBB0_79
	s_branch .LBB0_81
	.p2align	6
.LBB0_78:                               ;   in Loop: Header=BB0_3 Depth=1
	s_branch .LBB0_81
.LBB0_79:                               ;   Parent Loop BB0_3 Depth=1
                                        ; =>  This Inner Loop Header: Depth=2
	v_mov_b32_e32 v2, 1
	s_and_saveexec_b32 s1, s0
	s_cbranch_execz .LBB0_76
; %bb.80:                               ;   in Loop: Header=BB0_79 Depth=2
	global_load_b32 v2, v[31:32], off offset:20 glc
	s_waitcnt vmcnt(0)
	buffer_gl1_inv
	buffer_gl0_inv
	v_and_b32_e32 v2, 1, v2
	s_branch .LBB0_76
.LBB0_81:                               ;   in Loop: Header=BB0_3 Depth=1
	global_load_b128 v[0:3], v[0:1], off
	s_and_saveexec_b32 s1, s0
	s_cbranch_execz .LBB0_2
; %bb.82:                               ;   in Loop: Header=BB0_3 Depth=1
	s_clause 0x2
	global_load_b64 v[2:3], v10, s[2:3] offset:40
	global_load_b64 v[17:18], v10, s[2:3] offset:24 glc
	global_load_b64 v[15:16], v10, s[2:3]
	s_waitcnt vmcnt(2)
	v_add_co_u32 v9, vcc_lo, v2, 1
	v_add_co_ci_u32_e32 v19, vcc_lo, 0, v3, vcc_lo
	s_delay_alu instid0(VALU_DEP_2) | instskip(NEXT) | instid1(VALU_DEP_2)
	v_add_co_u32 v13, vcc_lo, v9, s4
	v_add_co_ci_u32_e32 v14, vcc_lo, s5, v19, vcc_lo
	s_delay_alu instid0(VALU_DEP_1) | instskip(SKIP_1) | instid1(VALU_DEP_1)
	v_cmp_eq_u64_e32 vcc_lo, 0, v[13:14]
	v_dual_cndmask_b32 v14, v14, v19 :: v_dual_cndmask_b32 v13, v13, v9
	v_and_b32_e32 v3, v14, v3
	s_delay_alu instid0(VALU_DEP_2) | instskip(NEXT) | instid1(VALU_DEP_2)
	v_and_b32_e32 v2, v13, v2
	v_mul_lo_u32 v3, v3, 24
	s_delay_alu instid0(VALU_DEP_2) | instskip(SKIP_1) | instid1(VALU_DEP_2)
	v_mul_hi_u32 v9, v2, 24
	v_mul_lo_u32 v2, v2, 24
	v_add_nc_u32_e32 v3, v9, v3
	s_waitcnt vmcnt(0)
	s_delay_alu instid0(VALU_DEP_2) | instskip(SKIP_1) | instid1(VALU_DEP_3)
	v_add_co_u32 v2, vcc_lo, v15, v2
	v_mov_b32_e32 v15, v17
	v_add_co_ci_u32_e32 v3, vcc_lo, v16, v3, vcc_lo
	v_mov_b32_e32 v16, v18
	global_store_b64 v[2:3], v[17:18], off
	s_waitcnt_vscnt null, 0x0
	global_atomic_cmpswap_b64 v[15:16], v10, v[13:16], s[2:3] offset:24 glc
	s_waitcnt vmcnt(0)
	v_cmp_ne_u64_e32 vcc_lo, v[15:16], v[17:18]
	s_and_b32 exec_lo, exec_lo, vcc_lo
	s_cbranch_execz .LBB0_2
; %bb.83:                               ;   in Loop: Header=BB0_3 Depth=1
	s_mov_b32 s0, 0
.LBB0_84:                               ;   Parent Loop BB0_3 Depth=1
                                        ; =>  This Inner Loop Header: Depth=2
	s_sleep 1
	global_store_b64 v[2:3], v[15:16], off
	s_waitcnt_vscnt null, 0x0
	global_atomic_cmpswap_b64 v[17:18], v10, v[13:16], s[2:3] offset:24 glc
	s_waitcnt vmcnt(0)
	v_cmp_eq_u64_e32 vcc_lo, v[17:18], v[15:16]
	v_dual_mov_b32 v15, v17 :: v_dual_mov_b32 v16, v18
	s_or_b32 s0, vcc_lo, s0
	s_delay_alu instid0(SALU_CYCLE_1)
	s_and_not1_b32 exec_lo, exec_lo, s0
	s_cbranch_execnz .LBB0_84
	s_branch .LBB0_2
.LBB0_85:
	s_or_b32 exec_lo, exec_lo, s12
                                        ; implicit-def: $vgpr0
                                        ; implicit-def: $vgpr33
                                        ; implicit-def: $vgpr1
.LBB0_86:
	s_and_not1_saveexec_b32 s1, s10
	s_cbranch_execz .LBB0_108
; %bb.87:
	s_load_b64 s[2:3], s[8:9], 0x50
	v_readfirstlane_b32 s0, v33
	v_mov_b32_e32 v8, 0
	v_mov_b32_e32 v9, 0
	s_delay_alu instid0(VALU_DEP_3) | instskip(NEXT) | instid1(VALU_DEP_1)
	v_cmp_eq_u32_e64 s0, s0, v33
	s_and_saveexec_b32 s4, s0
	s_cbranch_execz .LBB0_93
; %bb.88:
	s_waitcnt vmcnt(0)
	v_mov_b32_e32 v2, 0
	s_mov_b32 s5, exec_lo
	s_waitcnt lgkmcnt(0)
	global_load_b64 v[5:6], v2, s[2:3] offset:24 glc
	s_waitcnt vmcnt(0)
	buffer_gl1_inv
	buffer_gl0_inv
	s_clause 0x1
	global_load_b64 v[3:4], v2, s[2:3] offset:40
	global_load_b64 v[7:8], v2, s[2:3]
	s_waitcnt vmcnt(1)
	v_and_b32_e32 v3, v3, v5
	v_and_b32_e32 v4, v4, v6
	s_delay_alu instid0(VALU_DEP_2) | instskip(NEXT) | instid1(VALU_DEP_2)
	v_mul_hi_u32 v9, v3, 24
	v_mul_lo_u32 v4, v4, 24
	v_mul_lo_u32 v3, v3, 24
	s_delay_alu instid0(VALU_DEP_2) | instskip(SKIP_1) | instid1(VALU_DEP_2)
	v_add_nc_u32_e32 v4, v9, v4
	s_waitcnt vmcnt(0)
	v_add_co_u32 v3, vcc_lo, v7, v3
	s_delay_alu instid0(VALU_DEP_2)
	v_add_co_ci_u32_e32 v4, vcc_lo, v8, v4, vcc_lo
	global_load_b64 v[3:4], v[3:4], off glc
	s_waitcnt vmcnt(0)
	global_atomic_cmpswap_b64 v[8:9], v2, v[3:6], s[2:3] offset:24 glc
	s_waitcnt vmcnt(0)
	buffer_gl1_inv
	buffer_gl0_inv
	v_cmpx_ne_u64_e64 v[8:9], v[5:6]
	s_cbranch_execz .LBB0_92
; %bb.89:
	s_mov_b32 s6, 0
	.p2align	6
.LBB0_90:                               ; =>This Inner Loop Header: Depth=1
	s_sleep 1
	s_clause 0x1
	global_load_b64 v[3:4], v2, s[2:3] offset:40
	global_load_b64 v[10:11], v2, s[2:3]
	v_dual_mov_b32 v5, v8 :: v_dual_mov_b32 v6, v9
	s_waitcnt vmcnt(1)
	s_delay_alu instid0(VALU_DEP_1) | instskip(NEXT) | instid1(VALU_DEP_2)
	v_and_b32_e32 v3, v3, v5
	v_and_b32_e32 v4, v4, v6
	s_waitcnt vmcnt(0)
	s_delay_alu instid0(VALU_DEP_2) | instskip(NEXT) | instid1(VALU_DEP_1)
	v_mad_u64_u32 v[7:8], null, v3, 24, v[10:11]
	v_mov_b32_e32 v3, v8
	s_delay_alu instid0(VALU_DEP_1)
	v_mad_u64_u32 v[8:9], null, v4, 24, v[3:4]
	global_load_b64 v[3:4], v[7:8], off glc
	s_waitcnt vmcnt(0)
	global_atomic_cmpswap_b64 v[8:9], v2, v[3:6], s[2:3] offset:24 glc
	s_waitcnt vmcnt(0)
	buffer_gl1_inv
	buffer_gl0_inv
	v_cmp_eq_u64_e32 vcc_lo, v[8:9], v[5:6]
	s_or_b32 s6, vcc_lo, s6
	s_delay_alu instid0(SALU_CYCLE_1)
	s_and_not1_b32 exec_lo, exec_lo, s6
	s_cbranch_execnz .LBB0_90
; %bb.91:
	s_or_b32 exec_lo, exec_lo, s6
.LBB0_92:
	s_delay_alu instid0(SALU_CYCLE_1)
	s_or_b32 exec_lo, exec_lo, s5
.LBB0_93:
	s_delay_alu instid0(SALU_CYCLE_1)
	s_or_b32 exec_lo, exec_lo, s4
	s_waitcnt vmcnt(0)
	v_mov_b32_e32 v2, 0
	v_readfirstlane_b32 s4, v8
	v_readfirstlane_b32 s5, v9
	s_mov_b32 s8, exec_lo
	s_waitcnt lgkmcnt(0)
	s_clause 0x1
	global_load_b64 v[10:11], v2, s[2:3] offset:40
	global_load_b128 v[4:7], v2, s[2:3]
	s_waitcnt vmcnt(1)
	v_readfirstlane_b32 s6, v10
	v_readfirstlane_b32 s7, v11
	s_delay_alu instid0(VALU_DEP_1) | instskip(NEXT) | instid1(SALU_CYCLE_1)
	s_and_b64 s[6:7], s[4:5], s[6:7]
	s_mul_i32 s9, s7, 24
	s_mul_hi_u32 s10, s6, 24
	s_mul_i32 s11, s6, 24
	s_add_i32 s10, s10, s9
	s_waitcnt vmcnt(0)
	v_add_co_u32 v8, vcc_lo, v4, s11
	v_add_co_ci_u32_e32 v9, vcc_lo, s10, v5, vcc_lo
	s_and_saveexec_b32 s9, s0
	s_cbranch_execz .LBB0_95
; %bb.94:
	v_dual_mov_b32 v10, s8 :: v_dual_mov_b32 v11, v2
	v_dual_mov_b32 v12, 2 :: v_dual_mov_b32 v13, 1
	global_store_b128 v[8:9], v[10:13], off offset:8
.LBB0_95:
	s_or_b32 exec_lo, exec_lo, s9
	s_lshl_b64 s[6:7], s[6:7], 12
	s_mov_b32 s8, 0
	v_add_co_u32 v6, vcc_lo, v6, s6
	v_add_co_ci_u32_e32 v7, vcc_lo, s7, v7, vcc_lo
	s_mov_b32 s11, s8
	s_mov_b32 s9, s8
	;; [unrolled: 1-line block ×3, first 2 shown]
	v_and_or_b32 v0, 0xffffff1f, v0, 32
	v_dual_mov_b32 v3, v2 :: v_dual_lshlrev_b32 v14, 6, v33
	v_readfirstlane_b32 s6, v6
	v_readfirstlane_b32 s7, v7
	v_dual_mov_b32 v13, s11 :: v_dual_mov_b32 v12, s10
	v_dual_mov_b32 v11, s9 :: v_dual_mov_b32 v10, s8
	s_clause 0x3
	global_store_b128 v14, v[0:3], s[6:7]
	global_store_b128 v14, v[10:13], s[6:7] offset:16
	global_store_b128 v14, v[10:13], s[6:7] offset:32
	;; [unrolled: 1-line block ×3, first 2 shown]
	s_and_saveexec_b32 s6, s0
	s_cbranch_execz .LBB0_102
; %bb.96:
	v_mov_b32_e32 v6, 0
	s_mov_b32 s7, exec_lo
	s_clause 0x1
	global_load_b64 v[12:13], v6, s[2:3] offset:32 glc
	global_load_b64 v[0:1], v6, s[2:3] offset:40
	v_dual_mov_b32 v11, s5 :: v_dual_mov_b32 v10, s4
	s_waitcnt vmcnt(0)
	v_and_b32_e32 v1, s5, v1
	v_and_b32_e32 v0, s4, v0
	s_delay_alu instid0(VALU_DEP_2) | instskip(NEXT) | instid1(VALU_DEP_2)
	v_mul_lo_u32 v1, v1, 24
	v_mul_hi_u32 v2, v0, 24
	v_mul_lo_u32 v0, v0, 24
	s_delay_alu instid0(VALU_DEP_2) | instskip(NEXT) | instid1(VALU_DEP_2)
	v_add_nc_u32_e32 v1, v2, v1
	v_add_co_u32 v4, vcc_lo, v4, v0
	s_delay_alu instid0(VALU_DEP_2)
	v_add_co_ci_u32_e32 v5, vcc_lo, v5, v1, vcc_lo
	global_store_b64 v[4:5], v[12:13], off
	s_waitcnt_vscnt null, 0x0
	global_atomic_cmpswap_b64 v[2:3], v6, v[10:13], s[2:3] offset:32 glc
	s_waitcnt vmcnt(0)
	v_cmpx_ne_u64_e64 v[2:3], v[12:13]
	s_cbranch_execz .LBB0_98
.LBB0_97:                               ; =>This Inner Loop Header: Depth=1
	v_dual_mov_b32 v0, s4 :: v_dual_mov_b32 v1, s5
	s_sleep 1
	global_store_b64 v[4:5], v[2:3], off
	s_waitcnt_vscnt null, 0x0
	global_atomic_cmpswap_b64 v[0:1], v6, v[0:3], s[2:3] offset:32 glc
	s_waitcnt vmcnt(0)
	v_cmp_eq_u64_e32 vcc_lo, v[0:1], v[2:3]
	v_dual_mov_b32 v3, v1 :: v_dual_mov_b32 v2, v0
	s_or_b32 s8, vcc_lo, s8
	s_delay_alu instid0(SALU_CYCLE_1)
	s_and_not1_b32 exec_lo, exec_lo, s8
	s_cbranch_execnz .LBB0_97
.LBB0_98:
	s_or_b32 exec_lo, exec_lo, s7
	v_mov_b32_e32 v3, 0
	s_mov_b32 s8, exec_lo
	s_mov_b32 s7, exec_lo
	v_mbcnt_lo_u32_b32 v2, s8, 0
	global_load_b64 v[0:1], v3, s[2:3] offset:16
	v_cmpx_eq_u32_e32 0, v2
	s_cbranch_execz .LBB0_100
; %bb.99:
	s_bcnt1_i32_b32 s8, s8
	s_delay_alu instid0(SALU_CYCLE_1)
	v_mov_b32_e32 v2, s8
	s_waitcnt vmcnt(0)
	global_atomic_add_u64 v[0:1], v[2:3], off offset:8
.LBB0_100:
	s_or_b32 exec_lo, exec_lo, s7
	s_waitcnt vmcnt(0)
	global_load_b64 v[2:3], v[0:1], off offset:16
	s_waitcnt vmcnt(0)
	v_cmp_eq_u64_e32 vcc_lo, 0, v[2:3]
	s_cbranch_vccnz .LBB0_102
; %bb.101:
	global_load_b32 v0, v[0:1], off offset:24
	s_waitcnt vmcnt(0)
	v_dual_mov_b32 v1, 0 :: v_dual_and_b32 v4, 0xffffff, v0
	s_waitcnt_vscnt null, 0x0
	global_store_b64 v[2:3], v[0:1], off
	v_readfirstlane_b32 m0, v4
	s_sendmsg sendmsg(MSG_INTERRUPT)
.LBB0_102:
	s_or_b32 exec_lo, exec_lo, s6
	s_branch .LBB0_106
	.p2align	6
.LBB0_103:                              ;   in Loop: Header=BB0_106 Depth=1
	s_or_b32 exec_lo, exec_lo, s6
	s_delay_alu instid0(VALU_DEP_1) | instskip(NEXT) | instid1(VALU_DEP_1)
	v_readfirstlane_b32 s6, v0
	s_cmp_eq_u32 s6, 0
	s_cbranch_scc1 .LBB0_105
; %bb.104:                              ;   in Loop: Header=BB0_106 Depth=1
	s_sleep 1
	s_cbranch_execnz .LBB0_106
	s_branch .LBB0_109
	.p2align	6
.LBB0_105:
	s_branch .LBB0_109
.LBB0_106:                              ; =>This Inner Loop Header: Depth=1
	v_mov_b32_e32 v0, 1
	s_and_saveexec_b32 s6, s0
	s_cbranch_execz .LBB0_103
; %bb.107:                              ;   in Loop: Header=BB0_106 Depth=1
	global_load_b32 v0, v[8:9], off offset:20 glc
	s_waitcnt vmcnt(0)
	buffer_gl1_inv
	buffer_gl0_inv
	v_and_b32_e32 v0, 1, v0
	s_branch .LBB0_103
.LBB0_108:
	s_or_b32 exec_lo, exec_lo, s1
	s_waitcnt vmcnt(0) lgkmcnt(0)
	s_setpc_b64 s[30:31]
.LBB0_109:
	s_and_saveexec_b32 s6, s0
	s_cbranch_execz .LBB0_113
; %bb.110:
	v_mov_b32_e32 v6, 0
	s_clause 0x2
	global_load_b64 v[2:3], v6, s[2:3] offset:40
	global_load_b64 v[7:8], v6, s[2:3] offset:24 glc
	global_load_b64 v[4:5], v6, s[2:3]
	s_waitcnt vmcnt(2)
	v_add_co_u32 v9, vcc_lo, v2, 1
	v_add_co_ci_u32_e32 v10, vcc_lo, 0, v3, vcc_lo
	s_delay_alu instid0(VALU_DEP_2) | instskip(NEXT) | instid1(VALU_DEP_2)
	v_add_co_u32 v0, vcc_lo, v9, s4
	v_add_co_ci_u32_e32 v1, vcc_lo, s5, v10, vcc_lo
	s_delay_alu instid0(VALU_DEP_1) | instskip(SKIP_1) | instid1(VALU_DEP_1)
	v_cmp_eq_u64_e32 vcc_lo, 0, v[0:1]
	v_dual_cndmask_b32 v1, v1, v10 :: v_dual_cndmask_b32 v0, v0, v9
	v_and_b32_e32 v3, v1, v3
	s_delay_alu instid0(VALU_DEP_2) | instskip(NEXT) | instid1(VALU_DEP_2)
	v_and_b32_e32 v2, v0, v2
	v_mul_lo_u32 v3, v3, 24
	s_delay_alu instid0(VALU_DEP_2) | instskip(SKIP_1) | instid1(VALU_DEP_2)
	v_mul_hi_u32 v9, v2, 24
	v_mul_lo_u32 v2, v2, 24
	v_add_nc_u32_e32 v3, v9, v3
	s_waitcnt vmcnt(0)
	s_delay_alu instid0(VALU_DEP_2) | instskip(SKIP_1) | instid1(VALU_DEP_3)
	v_add_co_u32 v4, vcc_lo, v4, v2
	v_mov_b32_e32 v2, v7
	v_add_co_ci_u32_e32 v5, vcc_lo, v5, v3, vcc_lo
	v_mov_b32_e32 v3, v8
	global_store_b64 v[4:5], v[7:8], off
	s_waitcnt_vscnt null, 0x0
	global_atomic_cmpswap_b64 v[2:3], v6, v[0:3], s[2:3] offset:24 glc
	s_waitcnt vmcnt(0)
	v_cmp_ne_u64_e32 vcc_lo, v[2:3], v[7:8]
	s_and_b32 exec_lo, exec_lo, vcc_lo
	s_cbranch_execz .LBB0_113
; %bb.111:
	s_mov_b32 s0, 0
.LBB0_112:                              ; =>This Inner Loop Header: Depth=1
	s_sleep 1
	global_store_b64 v[4:5], v[2:3], off
	s_waitcnt_vscnt null, 0x0
	global_atomic_cmpswap_b64 v[7:8], v6, v[0:3], s[2:3] offset:24 glc
	s_waitcnt vmcnt(0)
	v_cmp_eq_u64_e32 vcc_lo, v[7:8], v[2:3]
	v_dual_mov_b32 v2, v7 :: v_dual_mov_b32 v3, v8
	s_or_b32 s0, vcc_lo, s0
	s_delay_alu instid0(SALU_CYCLE_1)
	s_and_not1_b32 exec_lo, exec_lo, s0
	s_cbranch_execnz .LBB0_112
.LBB0_113:
	s_or_b32 exec_lo, exec_lo, s6
	s_delay_alu instid0(SALU_CYCLE_1)
	s_or_b32 exec_lo, exec_lo, s1
	s_waitcnt lgkmcnt(0)
	s_setpc_b64 s[30:31]
.Lfunc_end0:
	.size	__ockl_fprintf_append_string_n, .Lfunc_end0-__ockl_fprintf_append_string_n
                                        ; -- End function
	.section	.AMDGPU.csdata,"",@progbits
; Function info:
; codeLenInByte = 4740
; NumSgprs: 34
; NumVgprs: 36
; ScratchSize: 0
; MemoryBound: 0
	.text
	.p2align	2                               ; -- Begin function __assert_fail
	.type	__assert_fail,@function
__assert_fail:                          ; @__assert_fail
; %bb.0:
	s_waitcnt vmcnt(0) expcnt(0) lgkmcnt(0)
	s_mov_b32 s20, s33
	s_mov_b32 s33, s32
	s_or_saveexec_b32 s0, -1
	scratch_store_b32 off, v40, s33 offset:48 ; 4-byte Folded Spill
	s_mov_b32 exec_lo, s0
	v_writelane_b32 v40, s30, 0
	s_add_i32 s32, s32, 64
	v_writelane_b32 v40, s31, 1
	s_getpc_b64 s[0:1]
	s_add_u32 s0, s0, __const.__assert_fail.fmt@rel32@lo+4
	s_addc_u32 s1, s1, __const.__assert_fail.fmt@rel32@hi+12
	s_getpc_b64 s[2:3]
	s_add_u32 s2, s2, __const.__assert_fail.fmt@rel32@lo+20
	s_addc_u32 s3, s3, __const.__assert_fail.fmt@rel32@hi+28
	v_mbcnt_lo_u32_b32 v35, -1, 0
	s_clause 0x1
	s_load_b128 s[4:7], s[0:1], 0x0
	s_load_b128 s[12:15], s[2:3], 0x0
	s_load_b64 s[2:3], s[8:9], 0x50
	v_dual_mov_b32 v5, v1 :: v_dual_mov_b32 v4, v0
	v_mov_b32_e32 v14, 0x73256020
	v_readfirstlane_b32 s0, v35
	v_mov_b32_e32 v0, 0
	v_dual_mov_b32 v2, 0 :: v_dual_mov_b32 v3, 0xa2e
	v_mov_b32_e32 v15, 0x61662027
	v_dual_mov_b32 v16, 0x64656c69 :: v_dual_mov_b32 v1, 0
	v_cmp_eq_u32_e64 s0, s0, v35
	s_waitcnt lgkmcnt(0)
	v_dual_mov_b32 v9, s7 :: v_dual_mov_b32 v8, s6
	v_dual_mov_b32 v7, s5 :: v_dual_mov_b32 v6, s4
	;; [unrolled: 1-line block ×4, first 2 shown]
	s_clause 0x4
	scratch_store_b128 off, v[6:9], s33
	scratch_store_b128 off, v[10:13], s33 offset:16
	scratch_store_b8 off, v2, s33 offset:46
	scratch_store_b16 off, v3, s33 offset:44
	scratch_store_b96 off, v[14:16], s33 offset:32
	s_and_saveexec_b32 s1, s0
	s_cbranch_execz .LBB1_6
; %bb.1:
	global_load_b64 v[8:9], v2, s[2:3] offset:24 glc
	s_waitcnt vmcnt(0)
	buffer_gl1_inv
	buffer_gl0_inv
	s_clause 0x1
	global_load_b64 v[0:1], v2, s[2:3] offset:40
	global_load_b64 v[6:7], v2, s[2:3]
	s_mov_b32 s4, exec_lo
	s_waitcnt vmcnt(1)
	v_and_b32_e32 v1, v1, v9
	v_and_b32_e32 v0, v0, v8
	s_delay_alu instid0(VALU_DEP_2) | instskip(NEXT) | instid1(VALU_DEP_2)
	v_mul_lo_u32 v1, v1, 24
	v_mul_hi_u32 v3, v0, 24
	v_mul_lo_u32 v0, v0, 24
	s_delay_alu instid0(VALU_DEP_2) | instskip(SKIP_1) | instid1(VALU_DEP_2)
	v_add_nc_u32_e32 v1, v3, v1
	s_waitcnt vmcnt(0)
	v_add_co_u32 v0, vcc_lo, v6, v0
	s_delay_alu instid0(VALU_DEP_2)
	v_add_co_ci_u32_e32 v1, vcc_lo, v7, v1, vcc_lo
	global_load_b64 v[6:7], v[0:1], off glc
	s_waitcnt vmcnt(0)
	global_atomic_cmpswap_b64 v[0:1], v2, v[6:9], s[2:3] offset:24 glc
	s_waitcnt vmcnt(0)
	buffer_gl1_inv
	buffer_gl0_inv
	v_cmpx_ne_u64_e64 v[0:1], v[8:9]
	s_cbranch_execz .LBB1_5
; %bb.2:
	s_mov_b32 s5, 0
	.p2align	6
.LBB1_3:                                ; =>This Inner Loop Header: Depth=1
	s_sleep 1
	s_clause 0x1
	global_load_b64 v[6:7], v2, s[2:3] offset:40
	global_load_b64 v[10:11], v2, s[2:3]
	v_dual_mov_b32 v9, v1 :: v_dual_mov_b32 v8, v0
	s_waitcnt vmcnt(1)
	s_delay_alu instid0(VALU_DEP_1) | instskip(SKIP_1) | instid1(VALU_DEP_1)
	v_and_b32_e32 v3, v6, v8
	s_waitcnt vmcnt(0)
	v_mad_u64_u32 v[0:1], null, v3, 24, v[10:11]
	v_and_b32_e32 v3, v7, v9
	s_delay_alu instid0(VALU_DEP_1) | instskip(NEXT) | instid1(VALU_DEP_1)
	v_mad_u64_u32 v[6:7], null, v3, 24, v[1:2]
	v_mov_b32_e32 v1, v6
	global_load_b64 v[6:7], v[0:1], off glc
	s_waitcnt vmcnt(0)
	global_atomic_cmpswap_b64 v[0:1], v2, v[6:9], s[2:3] offset:24 glc
	s_waitcnt vmcnt(0)
	buffer_gl1_inv
	buffer_gl0_inv
	v_cmp_eq_u64_e32 vcc_lo, v[0:1], v[8:9]
	s_or_b32 s5, vcc_lo, s5
	s_delay_alu instid0(SALU_CYCLE_1)
	s_and_not1_b32 exec_lo, exec_lo, s5
	s_cbranch_execnz .LBB1_3
; %bb.4:
	s_or_b32 exec_lo, exec_lo, s5
.LBB1_5:
	s_delay_alu instid0(SALU_CYCLE_1)
	s_or_b32 exec_lo, exec_lo, s4
.LBB1_6:
	s_delay_alu instid0(SALU_CYCLE_1)
	s_or_b32 exec_lo, exec_lo, s1
	s_clause 0x1
	global_load_b64 v[10:11], v2, s[2:3] offset:40
	global_load_b128 v[6:9], v2, s[2:3]
	v_readfirstlane_b32 s4, v0
	v_readfirstlane_b32 s5, v1
	s_mov_b32 s1, exec_lo
	s_waitcnt vmcnt(1)
	v_readfirstlane_b32 s6, v10
	v_readfirstlane_b32 s7, v11
	s_delay_alu instid0(VALU_DEP_1) | instskip(NEXT) | instid1(SALU_CYCLE_1)
	s_and_b64 s[6:7], s[4:5], s[6:7]
	s_mul_i32 s10, s7, 24
	s_mul_hi_u32 s11, s6, 24
	s_mul_i32 s12, s6, 24
	s_add_i32 s11, s11, s10
	s_waitcnt vmcnt(0)
	v_add_co_u32 v10, vcc_lo, v6, s12
	v_add_co_ci_u32_e32 v11, vcc_lo, s11, v7, vcc_lo
	s_and_saveexec_b32 s10, s0
	s_cbranch_execz .LBB1_8
; %bb.7:
	v_dual_mov_b32 v0, s1 :: v_dual_mov_b32 v1, 0
	v_dual_mov_b32 v2, 2 :: v_dual_mov_b32 v3, 1
	global_store_b128 v[10:11], v[0:3], off offset:8
.LBB1_8:
	s_or_b32 exec_lo, exec_lo, s10
	s_lshl_b64 s[6:7], s[6:7], 12
	v_dual_mov_b32 v1, 0 :: v_dual_lshlrev_b32 v34, 6, v35
	v_add_co_u32 v8, vcc_lo, v8, s6
	v_add_co_ci_u32_e32 v9, vcc_lo, s7, v9, vcc_lo
	s_mov_b32 s12, 0
	s_delay_alu instid0(VALU_DEP_2)
	v_add_co_u32 v12, vcc_lo, v8, v34
	s_mov_b32 s15, s12
	s_mov_b32 s13, s12
	;; [unrolled: 1-line block ×3, first 2 shown]
	v_dual_mov_b32 v0, 33 :: v_dual_mov_b32 v3, v1
	v_dual_mov_b32 v2, 1 :: v_dual_mov_b32 v17, s15
	v_readfirstlane_b32 s6, v8
	v_readfirstlane_b32 s7, v9
	v_add_co_ci_u32_e32 v13, vcc_lo, 0, v9, vcc_lo
	v_dual_mov_b32 v16, s14 :: v_dual_mov_b32 v15, s13
	v_mov_b32_e32 v14, s12
	s_clause 0x3
	global_store_b128 v34, v[0:3], s[6:7]
	global_store_b128 v34, v[14:17], s[6:7] offset:16
	global_store_b128 v34, v[14:17], s[6:7] offset:32
	;; [unrolled: 1-line block ×3, first 2 shown]
	s_and_saveexec_b32 s1, s0
	s_cbranch_execz .LBB1_16
; %bb.9:
	s_clause 0x1
	global_load_b64 v[16:17], v1, s[2:3] offset:32 glc
	global_load_b64 v[2:3], v1, s[2:3] offset:40
	v_mov_b32_e32 v14, s4
	s_mov_b32 s6, exec_lo
	s_waitcnt vmcnt(0)
	v_dual_mov_b32 v15, s5 :: v_dual_and_b32 v0, s5, v3
	v_and_b32_e32 v2, s4, v2
	s_delay_alu instid0(VALU_DEP_2) | instskip(NEXT) | instid1(VALU_DEP_2)
	v_mul_lo_u32 v0, v0, 24
	v_mul_hi_u32 v3, v2, 24
	v_mul_lo_u32 v2, v2, 24
	s_delay_alu instid0(VALU_DEP_2) | instskip(NEXT) | instid1(VALU_DEP_2)
	v_add_nc_u32_e32 v0, v3, v0
	v_add_co_u32 v2, vcc_lo, v6, v2
	s_delay_alu instid0(VALU_DEP_2)
	v_add_co_ci_u32_e32 v3, vcc_lo, v7, v0, vcc_lo
	global_store_b64 v[2:3], v[16:17], off
	s_waitcnt_vscnt null, 0x0
	global_atomic_cmpswap_b64 v[8:9], v1, v[14:17], s[2:3] offset:32 glc
	s_waitcnt vmcnt(0)
	v_cmpx_ne_u64_e64 v[8:9], v[16:17]
	s_cbranch_execz .LBB1_12
; %bb.10:
	s_mov_b32 s7, 0
.LBB1_11:                               ; =>This Inner Loop Header: Depth=1
	v_dual_mov_b32 v6, s4 :: v_dual_mov_b32 v7, s5
	s_sleep 1
	global_store_b64 v[2:3], v[8:9], off
	s_waitcnt_vscnt null, 0x0
	global_atomic_cmpswap_b64 v[6:7], v1, v[6:9], s[2:3] offset:32 glc
	s_waitcnt vmcnt(0)
	v_cmp_eq_u64_e32 vcc_lo, v[6:7], v[8:9]
	v_dual_mov_b32 v9, v7 :: v_dual_mov_b32 v8, v6
	s_or_b32 s7, vcc_lo, s7
	s_delay_alu instid0(SALU_CYCLE_1)
	s_and_not1_b32 exec_lo, exec_lo, s7
	s_cbranch_execnz .LBB1_11
.LBB1_12:
	s_or_b32 exec_lo, exec_lo, s6
	v_mov_b32_e32 v3, 0
	s_mov_b32 s7, exec_lo
	s_mov_b32 s6, exec_lo
	v_mbcnt_lo_u32_b32 v2, s7, 0
	global_load_b64 v[0:1], v3, s[2:3] offset:16
	v_cmpx_eq_u32_e32 0, v2
	s_cbranch_execz .LBB1_14
; %bb.13:
	s_bcnt1_i32_b32 s7, s7
	s_delay_alu instid0(SALU_CYCLE_1)
	v_mov_b32_e32 v2, s7
	s_waitcnt vmcnt(0)
	global_atomic_add_u64 v[0:1], v[2:3], off offset:8
.LBB1_14:
	s_or_b32 exec_lo, exec_lo, s6
	s_waitcnt vmcnt(0)
	global_load_b64 v[2:3], v[0:1], off offset:16
	s_waitcnt vmcnt(0)
	v_cmp_eq_u64_e32 vcc_lo, 0, v[2:3]
	s_cbranch_vccnz .LBB1_16
; %bb.15:
	global_load_b32 v0, v[0:1], off offset:24
	s_waitcnt vmcnt(0)
	v_dual_mov_b32 v1, 0 :: v_dual_and_b32 v6, 0xffffff, v0
	s_waitcnt_vscnt null, 0x0
	global_store_b64 v[2:3], v[0:1], off
	v_readfirstlane_b32 m0, v6
	s_sendmsg sendmsg(MSG_INTERRUPT)
.LBB1_16:
	s_or_b32 exec_lo, exec_lo, s1
	s_branch .LBB1_20
	.p2align	6
.LBB1_17:                               ;   in Loop: Header=BB1_20 Depth=1
	s_or_b32 exec_lo, exec_lo, s1
	s_delay_alu instid0(VALU_DEP_1) | instskip(NEXT) | instid1(VALU_DEP_1)
	v_readfirstlane_b32 s1, v0
	s_cmp_eq_u32 s1, 0
	s_cbranch_scc1 .LBB1_19
; %bb.18:                               ;   in Loop: Header=BB1_20 Depth=1
	s_sleep 1
	s_cbranch_execnz .LBB1_20
	s_branch .LBB1_22
	.p2align	6
.LBB1_19:
	s_branch .LBB1_22
.LBB1_20:                               ; =>This Inner Loop Header: Depth=1
	v_mov_b32_e32 v0, 1
	s_and_saveexec_b32 s1, s0
	s_cbranch_execz .LBB1_17
; %bb.21:                               ;   in Loop: Header=BB1_20 Depth=1
	global_load_b32 v0, v[10:11], off offset:20 glc
	s_waitcnt vmcnt(0)
	buffer_gl1_inv
	buffer_gl0_inv
	v_and_b32_e32 v0, 1, v0
	s_branch .LBB1_17
.LBB1_22:
	global_load_b64 v[6:7], v[12:13], off
	s_and_saveexec_b32 s1, s0
	s_cbranch_execz .LBB1_26
; %bb.23:
	v_mov_b32_e32 v10, 0
	s_clause 0x2
	global_load_b64 v[2:3], v10, s[2:3] offset:40
	global_load_b64 v[11:12], v10, s[2:3] offset:24 glc
	global_load_b64 v[8:9], v10, s[2:3]
	s_waitcnt vmcnt(2)
	v_add_co_u32 v13, vcc_lo, v2, 1
	v_add_co_ci_u32_e32 v14, vcc_lo, 0, v3, vcc_lo
	s_delay_alu instid0(VALU_DEP_2) | instskip(NEXT) | instid1(VALU_DEP_2)
	v_add_co_u32 v0, vcc_lo, v13, s4
	v_add_co_ci_u32_e32 v1, vcc_lo, s5, v14, vcc_lo
	s_delay_alu instid0(VALU_DEP_1) | instskip(SKIP_1) | instid1(VALU_DEP_1)
	v_cmp_eq_u64_e32 vcc_lo, 0, v[0:1]
	v_dual_cndmask_b32 v1, v1, v14 :: v_dual_cndmask_b32 v0, v0, v13
	v_and_b32_e32 v3, v1, v3
	s_delay_alu instid0(VALU_DEP_2) | instskip(NEXT) | instid1(VALU_DEP_2)
	v_and_b32_e32 v2, v0, v2
	v_mul_lo_u32 v3, v3, 24
	s_delay_alu instid0(VALU_DEP_2) | instskip(SKIP_1) | instid1(VALU_DEP_2)
	v_mul_hi_u32 v13, v2, 24
	v_mul_lo_u32 v2, v2, 24
	v_add_nc_u32_e32 v3, v13, v3
	s_waitcnt vmcnt(0)
	s_delay_alu instid0(VALU_DEP_2) | instskip(SKIP_1) | instid1(VALU_DEP_3)
	v_add_co_u32 v8, vcc_lo, v8, v2
	v_mov_b32_e32 v2, v11
	v_add_co_ci_u32_e32 v9, vcc_lo, v9, v3, vcc_lo
	v_mov_b32_e32 v3, v12
	global_store_b64 v[8:9], v[11:12], off
	s_waitcnt_vscnt null, 0x0
	global_atomic_cmpswap_b64 v[2:3], v10, v[0:3], s[2:3] offset:24 glc
	s_waitcnt vmcnt(0)
	v_cmp_ne_u64_e32 vcc_lo, v[2:3], v[11:12]
	s_and_b32 exec_lo, exec_lo, vcc_lo
	s_cbranch_execz .LBB1_26
; %bb.24:
	s_mov_b32 s0, 0
.LBB1_25:                               ; =>This Inner Loop Header: Depth=1
	s_sleep 1
	global_store_b64 v[8:9], v[2:3], off
	s_waitcnt_vscnt null, 0x0
	global_atomic_cmpswap_b64 v[11:12], v10, v[0:3], s[2:3] offset:24 glc
	s_waitcnt vmcnt(0)
	v_cmp_eq_u64_e32 vcc_lo, v[11:12], v[2:3]
	v_dual_mov_b32 v2, v11 :: v_dual_mov_b32 v3, v12
	s_or_b32 s0, vcc_lo, s0
	s_delay_alu instid0(SALU_CYCLE_1)
	s_and_not1_b32 exec_lo, exec_lo, s0
	s_cbranch_execnz .LBB1_25
.LBB1_26:
	s_or_b32 exec_lo, exec_lo, s1
	v_mov_b32_e32 v1, s33
	s_mov_b32 s0, 0
.LBB1_27:                               ; =>This Inner Loop Header: Depth=1
	scratch_load_u8 v2, v1, off
	v_add_nc_u32_e32 v0, 1, v1
	s_delay_alu instid0(VALU_DEP_1) | instskip(SKIP_3) | instid1(SALU_CYCLE_1)
	v_mov_b32_e32 v1, v0
	s_waitcnt vmcnt(0)
	v_cmp_eq_u16_e32 vcc_lo, 0, v2
	s_or_b32 s0, vcc_lo, s0
	s_and_not1_b32 exec_lo, exec_lo, s0
	s_cbranch_execnz .LBB1_27
; %bb.28:
	s_or_b32 exec_lo, exec_lo, s0
	v_cmp_ne_u32_e64 s0, -1, s33
	s_delay_alu instid0(VALU_DEP_1)
	s_and_b32 vcc_lo, exec_lo, s0
	s_cbranch_vccz .LBB1_113
; %bb.29:
	v_subrev_nc_u32_e32 v28, s33, v0
	v_dual_mov_b32 v9, 0 :: v_dual_and_b32 v36, 2, v6
	v_dual_mov_b32 v1, v7 :: v_dual_and_b32 v0, -3, v6
	s_delay_alu instid0(VALU_DEP_3)
	v_ashrrev_i32_e32 v29, 31, v28
	v_dual_mov_b32 v37, s33 :: v_dual_mov_b32 v10, 2
	v_mov_b32_e32 v11, 1
	s_mov_b32 s11, 0
	s_mov_b32 s10, 0
	s_branch .LBB1_31
.LBB1_30:                               ;   in Loop: Header=BB1_31 Depth=1
	s_or_b32 exec_lo, exec_lo, s1
	v_sub_co_u32 v28, vcc_lo, v28, v30
	v_sub_co_ci_u32_e32 v29, vcc_lo, v29, v31, vcc_lo
	v_add_nc_u32_e32 v37, v37, v30
	s_delay_alu instid0(VALU_DEP_2) | instskip(SKIP_1) | instid1(SALU_CYCLE_1)
	v_cmp_eq_u64_e32 vcc_lo, 0, v[28:29]
	s_or_b32 s10, vcc_lo, s10
	s_and_not1_b32 exec_lo, exec_lo, s10
	s_cbranch_execz .LBB1_114
.LBB1_31:                               ; =>This Loop Header: Depth=1
                                        ;     Child Loop BB1_34 Depth 2
                                        ;     Child Loop BB1_42 Depth 2
	;; [unrolled: 1-line block ×11, first 2 shown]
	v_cmp_gt_u64_e32 vcc_lo, 56, v[28:29]
	s_mov_b32 s4, exec_lo
                                        ; implicit-def: $vgpr2_vgpr3
                                        ; implicit-def: $sgpr1
	v_dual_cndmask_b32 v31, 0, v29 :: v_dual_cndmask_b32 v30, 56, v28
	v_cmpx_gt_u64_e32 8, v[28:29]
	s_xor_b32 s4, exec_lo, s4
	s_cbranch_execz .LBB1_37
; %bb.32:                               ;   in Loop: Header=BB1_31 Depth=1
	s_waitcnt vmcnt(0)
	v_mov_b32_e32 v2, 0
	v_mov_b32_e32 v3, 0
	s_mov_b64 s[0:1], 0
	s_mov_b32 s5, exec_lo
	v_cmpx_ne_u64_e32 0, v[28:29]
	s_cbranch_execz .LBB1_36
; %bb.33:                               ;   in Loop: Header=BB1_31 Depth=1
	v_lshlrev_b64 v[12:13], 3, v[30:31]
	v_mov_b32_e32 v2, 0
	v_dual_mov_b32 v3, 0 :: v_dual_mov_b32 v8, v37
	s_mov_b32 s6, 0
.LBB1_34:                               ;   Parent Loop BB1_31 Depth=1
                                        ; =>  This Inner Loop Header: Depth=2
	scratch_load_u8 v13, v8, off
	v_mov_b32_e32 v14, s11
	v_add_nc_u32_e32 v8, 1, v8
	s_waitcnt vmcnt(0)
	v_and_b32_e32 v13, 0xffff, v13
	s_delay_alu instid0(VALU_DEP_1) | instskip(SKIP_3) | instid1(VALU_DEP_2)
	v_lshlrev_b64 v[13:14], s0, v[13:14]
	s_add_u32 s0, s0, 8
	s_addc_u32 s1, s1, 0
	v_cmp_eq_u32_e32 vcc_lo, s0, v12
	v_or_b32_e32 v3, v14, v3
	s_delay_alu instid0(VALU_DEP_3) | instskip(SKIP_1) | instid1(SALU_CYCLE_1)
	v_or_b32_e32 v2, v13, v2
	s_or_b32 s6, vcc_lo, s6
	s_and_not1_b32 exec_lo, exec_lo, s6
	s_cbranch_execnz .LBB1_34
; %bb.35:                               ;   in Loop: Header=BB1_31 Depth=1
	s_or_b32 exec_lo, exec_lo, s6
.LBB1_36:                               ;   in Loop: Header=BB1_31 Depth=1
	s_delay_alu instid0(SALU_CYCLE_1)
	s_or_b32 exec_lo, exec_lo, s5
	s_mov_b32 s1, 0
.LBB1_37:                               ;   in Loop: Header=BB1_31 Depth=1
	s_or_saveexec_b32 s0, s4
	v_mov_b32_e32 v14, s1
	v_mov_b32_e32 v8, v37
	s_xor_b32 exec_lo, exec_lo, s0
	s_cbranch_execz .LBB1_39
; %bb.38:                               ;   in Loop: Header=BB1_31 Depth=1
	scratch_load_b64 v[2:3], v37, off
	v_add_nc_u32_e32 v14, -8, v30
	s_waitcnt vmcnt(0)
	v_and_b32_e32 v8, 0xff, v3
	v_and_b32_e32 v12, 0xff00, v3
	;; [unrolled: 1-line block ×4, first 2 shown]
	v_or3_b32 v2, v2, 0, 0
	s_delay_alu instid0(VALU_DEP_4) | instskip(NEXT) | instid1(VALU_DEP_1)
	v_or_b32_e32 v8, v8, v12
	v_or3_b32 v3, v8, v13, v3
	v_add_nc_u32_e32 v8, 8, v37
.LBB1_39:                               ;   in Loop: Header=BB1_31 Depth=1
	s_or_b32 exec_lo, exec_lo, s0
                                        ; implicit-def: $vgpr12_vgpr13
                                        ; implicit-def: $sgpr1
	s_delay_alu instid0(SALU_CYCLE_1)
	s_mov_b32 s0, exec_lo
	v_cmpx_gt_u32_e32 8, v14
	s_xor_b32 s4, exec_lo, s0
	s_cbranch_execz .LBB1_45
; %bb.40:                               ;   in Loop: Header=BB1_31 Depth=1
	v_mov_b32_e32 v12, 0
	v_mov_b32_e32 v13, 0
	s_mov_b32 s5, exec_lo
	v_cmpx_ne_u32_e32 0, v14
	s_cbranch_execz .LBB1_44
; %bb.41:                               ;   in Loop: Header=BB1_31 Depth=1
	v_mov_b32_e32 v12, 0
	v_mov_b32_e32 v13, 0
	s_mov_b64 s[0:1], 0
	s_mov_b32 s6, 0
	s_mov_b32 s7, 0
	.p2align	6
.LBB1_42:                               ;   Parent Loop BB1_31 Depth=1
                                        ; =>  This Inner Loop Header: Depth=2
	s_delay_alu instid0(SALU_CYCLE_1) | instskip(SKIP_1) | instid1(SALU_CYCLE_1)
	v_dual_mov_b32 v16, s11 :: v_dual_add_nc_u32 v15, s7, v8
	s_add_i32 s7, s7, 1
	v_cmp_eq_u32_e32 vcc_lo, s7, v14
	scratch_load_u8 v15, v15, off
	s_waitcnt vmcnt(0)
	v_and_b32_e32 v15, 0xffff, v15
	s_delay_alu instid0(VALU_DEP_1) | instskip(SKIP_3) | instid1(VALU_DEP_1)
	v_lshlrev_b64 v[15:16], s0, v[15:16]
	s_add_u32 s0, s0, 8
	s_addc_u32 s1, s1, 0
	s_or_b32 s6, vcc_lo, s6
	v_or_b32_e32 v13, v16, v13
	s_delay_alu instid0(VALU_DEP_2)
	v_or_b32_e32 v12, v15, v12
	s_and_not1_b32 exec_lo, exec_lo, s6
	s_cbranch_execnz .LBB1_42
; %bb.43:                               ;   in Loop: Header=BB1_31 Depth=1
	s_or_b32 exec_lo, exec_lo, s6
.LBB1_44:                               ;   in Loop: Header=BB1_31 Depth=1
	s_delay_alu instid0(SALU_CYCLE_1)
	s_or_b32 exec_lo, exec_lo, s5
	s_mov_b32 s1, 0
                                        ; implicit-def: $vgpr14
.LBB1_45:                               ;   in Loop: Header=BB1_31 Depth=1
	s_or_saveexec_b32 s0, s4
	v_mov_b32_e32 v16, s1
	s_xor_b32 exec_lo, exec_lo, s0
	s_cbranch_execz .LBB1_47
; %bb.46:                               ;   in Loop: Header=BB1_31 Depth=1
	scratch_load_b64 v[12:13], v8, off
	v_add_nc_u32_e32 v8, 8, v8
	s_waitcnt vmcnt(0)
	v_and_b32_e32 v15, 0xff, v13
	v_and_b32_e32 v16, 0xff00, v13
	;; [unrolled: 1-line block ×4, first 2 shown]
	v_or3_b32 v12, v12, 0, 0
	s_delay_alu instid0(VALU_DEP_4) | instskip(SKIP_1) | instid1(VALU_DEP_2)
	v_or_b32_e32 v15, v15, v16
	v_add_nc_u32_e32 v16, -8, v14
	v_or3_b32 v13, v15, v17, v13
.LBB1_47:                               ;   in Loop: Header=BB1_31 Depth=1
	s_or_b32 exec_lo, exec_lo, s0
                                        ; implicit-def: $sgpr1
	s_delay_alu instid0(SALU_CYCLE_1) | instskip(NEXT) | instid1(VALU_DEP_1)
	s_mov_b32 s0, exec_lo
	v_cmpx_gt_u32_e32 8, v16
	s_xor_b32 s4, exec_lo, s0
	s_cbranch_execz .LBB1_53
; %bb.48:                               ;   in Loop: Header=BB1_31 Depth=1
	v_mov_b32_e32 v14, 0
	v_mov_b32_e32 v15, 0
	s_mov_b32 s5, exec_lo
	v_cmpx_ne_u32_e32 0, v16
	s_cbranch_execz .LBB1_52
; %bb.49:                               ;   in Loop: Header=BB1_31 Depth=1
	v_mov_b32_e32 v14, 0
	v_mov_b32_e32 v15, 0
	s_mov_b64 s[0:1], 0
	s_mov_b32 s6, 0
	s_mov_b32 s7, 0
	.p2align	6
.LBB1_50:                               ;   Parent Loop BB1_31 Depth=1
                                        ; =>  This Inner Loop Header: Depth=2
	s_delay_alu instid0(SALU_CYCLE_1) | instskip(SKIP_1) | instid1(SALU_CYCLE_1)
	v_dual_mov_b32 v18, s11 :: v_dual_add_nc_u32 v17, s7, v8
	s_add_i32 s7, s7, 1
	v_cmp_eq_u32_e32 vcc_lo, s7, v16
	scratch_load_u8 v17, v17, off
	s_waitcnt vmcnt(0)
	v_and_b32_e32 v17, 0xffff, v17
	s_delay_alu instid0(VALU_DEP_1) | instskip(SKIP_3) | instid1(VALU_DEP_1)
	v_lshlrev_b64 v[17:18], s0, v[17:18]
	s_add_u32 s0, s0, 8
	s_addc_u32 s1, s1, 0
	s_or_b32 s6, vcc_lo, s6
	v_or_b32_e32 v15, v18, v15
	s_delay_alu instid0(VALU_DEP_2)
	v_or_b32_e32 v14, v17, v14
	s_and_not1_b32 exec_lo, exec_lo, s6
	s_cbranch_execnz .LBB1_50
; %bb.51:                               ;   in Loop: Header=BB1_31 Depth=1
	s_or_b32 exec_lo, exec_lo, s6
.LBB1_52:                               ;   in Loop: Header=BB1_31 Depth=1
	s_delay_alu instid0(SALU_CYCLE_1)
	s_or_b32 exec_lo, exec_lo, s5
	s_mov_b32 s1, 0
                                        ; implicit-def: $vgpr16
.LBB1_53:                               ;   in Loop: Header=BB1_31 Depth=1
	s_or_saveexec_b32 s0, s4
	v_mov_b32_e32 v18, s1
	s_xor_b32 exec_lo, exec_lo, s0
	s_cbranch_execz .LBB1_55
; %bb.54:                               ;   in Loop: Header=BB1_31 Depth=1
	scratch_load_b64 v[14:15], v8, off
	v_add_nc_u32_e32 v8, 8, v8
	s_waitcnt vmcnt(0)
	v_and_b32_e32 v17, 0xff, v15
	v_and_b32_e32 v18, 0xff00, v15
	;; [unrolled: 1-line block ×4, first 2 shown]
	v_or3_b32 v14, v14, 0, 0
	s_delay_alu instid0(VALU_DEP_4) | instskip(SKIP_1) | instid1(VALU_DEP_2)
	v_or_b32_e32 v17, v17, v18
	v_add_nc_u32_e32 v18, -8, v16
	v_or3_b32 v15, v17, v19, v15
.LBB1_55:                               ;   in Loop: Header=BB1_31 Depth=1
	s_or_b32 exec_lo, exec_lo, s0
                                        ; implicit-def: $vgpr16_vgpr17
                                        ; implicit-def: $sgpr1
	s_delay_alu instid0(SALU_CYCLE_1) | instskip(NEXT) | instid1(VALU_DEP_1)
	s_mov_b32 s0, exec_lo
	v_cmpx_gt_u32_e32 8, v18
	s_xor_b32 s4, exec_lo, s0
	s_cbranch_execz .LBB1_61
; %bb.56:                               ;   in Loop: Header=BB1_31 Depth=1
	v_mov_b32_e32 v16, 0
	v_mov_b32_e32 v17, 0
	s_mov_b32 s5, exec_lo
	v_cmpx_ne_u32_e32 0, v18
	s_cbranch_execz .LBB1_60
; %bb.57:                               ;   in Loop: Header=BB1_31 Depth=1
	v_mov_b32_e32 v16, 0
	v_mov_b32_e32 v17, 0
	s_mov_b64 s[0:1], 0
	s_mov_b32 s6, 0
	s_mov_b32 s7, 0
	.p2align	6
.LBB1_58:                               ;   Parent Loop BB1_31 Depth=1
                                        ; =>  This Inner Loop Header: Depth=2
	s_delay_alu instid0(SALU_CYCLE_1) | instskip(SKIP_1) | instid1(SALU_CYCLE_1)
	v_dual_mov_b32 v20, s11 :: v_dual_add_nc_u32 v19, s7, v8
	s_add_i32 s7, s7, 1
	v_cmp_eq_u32_e32 vcc_lo, s7, v18
	scratch_load_u8 v19, v19, off
	s_waitcnt vmcnt(0)
	v_and_b32_e32 v19, 0xffff, v19
	s_delay_alu instid0(VALU_DEP_1) | instskip(SKIP_3) | instid1(VALU_DEP_1)
	v_lshlrev_b64 v[19:20], s0, v[19:20]
	s_add_u32 s0, s0, 8
	s_addc_u32 s1, s1, 0
	s_or_b32 s6, vcc_lo, s6
	v_or_b32_e32 v17, v20, v17
	s_delay_alu instid0(VALU_DEP_2)
	v_or_b32_e32 v16, v19, v16
	s_and_not1_b32 exec_lo, exec_lo, s6
	s_cbranch_execnz .LBB1_58
; %bb.59:                               ;   in Loop: Header=BB1_31 Depth=1
	s_or_b32 exec_lo, exec_lo, s6
.LBB1_60:                               ;   in Loop: Header=BB1_31 Depth=1
	s_delay_alu instid0(SALU_CYCLE_1)
	s_or_b32 exec_lo, exec_lo, s5
	s_mov_b32 s1, 0
                                        ; implicit-def: $vgpr18
.LBB1_61:                               ;   in Loop: Header=BB1_31 Depth=1
	s_or_saveexec_b32 s0, s4
	v_mov_b32_e32 v20, s1
	s_xor_b32 exec_lo, exec_lo, s0
	s_cbranch_execz .LBB1_63
; %bb.62:                               ;   in Loop: Header=BB1_31 Depth=1
	scratch_load_b64 v[16:17], v8, off
	v_add_nc_u32_e32 v8, 8, v8
	s_waitcnt vmcnt(0)
	v_and_b32_e32 v19, 0xff, v17
	v_and_b32_e32 v20, 0xff00, v17
	v_and_b32_e32 v21, 0xff0000, v17
	v_and_b32_e32 v17, 0xff000000, v17
	v_or3_b32 v16, v16, 0, 0
	s_delay_alu instid0(VALU_DEP_4) | instskip(SKIP_1) | instid1(VALU_DEP_2)
	v_or_b32_e32 v19, v19, v20
	v_add_nc_u32_e32 v20, -8, v18
	v_or3_b32 v17, v19, v21, v17
.LBB1_63:                               ;   in Loop: Header=BB1_31 Depth=1
	s_or_b32 exec_lo, exec_lo, s0
                                        ; implicit-def: $sgpr1
	s_delay_alu instid0(SALU_CYCLE_1) | instskip(NEXT) | instid1(VALU_DEP_1)
	s_mov_b32 s0, exec_lo
	v_cmpx_gt_u32_e32 8, v20
	s_xor_b32 s4, exec_lo, s0
	s_cbranch_execz .LBB1_69
; %bb.64:                               ;   in Loop: Header=BB1_31 Depth=1
	v_mov_b32_e32 v18, 0
	v_mov_b32_e32 v19, 0
	s_mov_b32 s5, exec_lo
	v_cmpx_ne_u32_e32 0, v20
	s_cbranch_execz .LBB1_68
; %bb.65:                               ;   in Loop: Header=BB1_31 Depth=1
	v_mov_b32_e32 v18, 0
	v_mov_b32_e32 v19, 0
	s_mov_b64 s[0:1], 0
	s_mov_b32 s6, 0
	s_mov_b32 s7, 0
	.p2align	6
.LBB1_66:                               ;   Parent Loop BB1_31 Depth=1
                                        ; =>  This Inner Loop Header: Depth=2
	s_delay_alu instid0(SALU_CYCLE_1) | instskip(SKIP_1) | instid1(SALU_CYCLE_1)
	v_dual_mov_b32 v22, s11 :: v_dual_add_nc_u32 v21, s7, v8
	s_add_i32 s7, s7, 1
	v_cmp_eq_u32_e32 vcc_lo, s7, v20
	scratch_load_u8 v21, v21, off
	s_waitcnt vmcnt(0)
	v_and_b32_e32 v21, 0xffff, v21
	s_delay_alu instid0(VALU_DEP_1) | instskip(SKIP_3) | instid1(VALU_DEP_1)
	v_lshlrev_b64 v[21:22], s0, v[21:22]
	s_add_u32 s0, s0, 8
	s_addc_u32 s1, s1, 0
	s_or_b32 s6, vcc_lo, s6
	v_or_b32_e32 v19, v22, v19
	s_delay_alu instid0(VALU_DEP_2)
	v_or_b32_e32 v18, v21, v18
	s_and_not1_b32 exec_lo, exec_lo, s6
	s_cbranch_execnz .LBB1_66
; %bb.67:                               ;   in Loop: Header=BB1_31 Depth=1
	s_or_b32 exec_lo, exec_lo, s6
.LBB1_68:                               ;   in Loop: Header=BB1_31 Depth=1
	s_delay_alu instid0(SALU_CYCLE_1)
	s_or_b32 exec_lo, exec_lo, s5
	s_mov_b32 s1, 0
                                        ; implicit-def: $vgpr20
.LBB1_69:                               ;   in Loop: Header=BB1_31 Depth=1
	s_or_saveexec_b32 s0, s4
	v_mov_b32_e32 v22, s1
	s_xor_b32 exec_lo, exec_lo, s0
	s_cbranch_execz .LBB1_71
; %bb.70:                               ;   in Loop: Header=BB1_31 Depth=1
	scratch_load_b64 v[18:19], v8, off
	v_add_nc_u32_e32 v8, 8, v8
	s_waitcnt vmcnt(0)
	v_and_b32_e32 v21, 0xff, v19
	v_and_b32_e32 v22, 0xff00, v19
	v_and_b32_e32 v23, 0xff0000, v19
	v_and_b32_e32 v19, 0xff000000, v19
	v_or3_b32 v18, v18, 0, 0
	s_delay_alu instid0(VALU_DEP_4) | instskip(SKIP_1) | instid1(VALU_DEP_2)
	v_or_b32_e32 v21, v21, v22
	v_add_nc_u32_e32 v22, -8, v20
	v_or3_b32 v19, v21, v23, v19
.LBB1_71:                               ;   in Loop: Header=BB1_31 Depth=1
	s_or_b32 exec_lo, exec_lo, s0
                                        ; implicit-def: $vgpr20_vgpr21
                                        ; implicit-def: $sgpr1
	s_delay_alu instid0(SALU_CYCLE_1) | instskip(NEXT) | instid1(VALU_DEP_1)
	s_mov_b32 s0, exec_lo
	v_cmpx_gt_u32_e32 8, v22
	s_xor_b32 s4, exec_lo, s0
	s_cbranch_execz .LBB1_77
; %bb.72:                               ;   in Loop: Header=BB1_31 Depth=1
	v_mov_b32_e32 v20, 0
	v_mov_b32_e32 v21, 0
	s_mov_b32 s5, exec_lo
	v_cmpx_ne_u32_e32 0, v22
	s_cbranch_execz .LBB1_76
; %bb.73:                               ;   in Loop: Header=BB1_31 Depth=1
	v_mov_b32_e32 v20, 0
	v_mov_b32_e32 v21, 0
	s_mov_b64 s[0:1], 0
	s_mov_b32 s6, 0
	s_mov_b32 s7, 0
	.p2align	6
.LBB1_74:                               ;   Parent Loop BB1_31 Depth=1
                                        ; =>  This Inner Loop Header: Depth=2
	s_delay_alu instid0(SALU_CYCLE_1) | instskip(SKIP_1) | instid1(SALU_CYCLE_1)
	v_dual_mov_b32 v24, s11 :: v_dual_add_nc_u32 v23, s7, v8
	s_add_i32 s7, s7, 1
	v_cmp_eq_u32_e32 vcc_lo, s7, v22
	scratch_load_u8 v23, v23, off
	s_waitcnt vmcnt(0)
	v_and_b32_e32 v23, 0xffff, v23
	s_delay_alu instid0(VALU_DEP_1) | instskip(SKIP_3) | instid1(VALU_DEP_1)
	v_lshlrev_b64 v[23:24], s0, v[23:24]
	s_add_u32 s0, s0, 8
	s_addc_u32 s1, s1, 0
	s_or_b32 s6, vcc_lo, s6
	v_or_b32_e32 v21, v24, v21
	s_delay_alu instid0(VALU_DEP_2)
	v_or_b32_e32 v20, v23, v20
	s_and_not1_b32 exec_lo, exec_lo, s6
	s_cbranch_execnz .LBB1_74
; %bb.75:                               ;   in Loop: Header=BB1_31 Depth=1
	s_or_b32 exec_lo, exec_lo, s6
.LBB1_76:                               ;   in Loop: Header=BB1_31 Depth=1
	s_delay_alu instid0(SALU_CYCLE_1)
	s_or_b32 exec_lo, exec_lo, s5
	s_mov_b32 s1, 0
                                        ; implicit-def: $vgpr22
.LBB1_77:                               ;   in Loop: Header=BB1_31 Depth=1
	s_or_saveexec_b32 s0, s4
	v_mov_b32_e32 v24, s1
	s_xor_b32 exec_lo, exec_lo, s0
	s_cbranch_execz .LBB1_79
; %bb.78:                               ;   in Loop: Header=BB1_31 Depth=1
	scratch_load_b64 v[20:21], v8, off
	v_add_nc_u32_e32 v8, 8, v8
	s_waitcnt vmcnt(0)
	v_and_b32_e32 v23, 0xff, v21
	v_and_b32_e32 v24, 0xff00, v21
	;; [unrolled: 1-line block ×4, first 2 shown]
	v_or3_b32 v20, v20, 0, 0
	s_delay_alu instid0(VALU_DEP_4) | instskip(SKIP_1) | instid1(VALU_DEP_2)
	v_or_b32_e32 v23, v23, v24
	v_add_nc_u32_e32 v24, -8, v22
	v_or3_b32 v21, v23, v25, v21
.LBB1_79:                               ;   in Loop: Header=BB1_31 Depth=1
	s_or_b32 exec_lo, exec_lo, s0
	s_delay_alu instid0(SALU_CYCLE_1) | instskip(NEXT) | instid1(VALU_DEP_1)
	s_mov_b32 s0, exec_lo
	v_cmpx_gt_u32_e32 8, v24
	s_xor_b32 s4, exec_lo, s0
	s_cbranch_execz .LBB1_85
; %bb.80:                               ;   in Loop: Header=BB1_31 Depth=1
	v_mov_b32_e32 v22, 0
	v_mov_b32_e32 v23, 0
	s_mov_b32 s5, exec_lo
	v_cmpx_ne_u32_e32 0, v24
	s_cbranch_execz .LBB1_84
; %bb.81:                               ;   in Loop: Header=BB1_31 Depth=1
	v_mov_b32_e32 v22, 0
	v_mov_b32_e32 v23, 0
	s_mov_b64 s[0:1], 0
	s_mov_b32 s6, 0
	.p2align	6
.LBB1_82:                               ;   Parent Loop BB1_31 Depth=1
                                        ; =>  This Inner Loop Header: Depth=2
	scratch_load_u8 v25, v8, off
	v_mov_b32_e32 v26, s11
	v_add_nc_u32_e32 v24, -1, v24
	v_add_nc_u32_e32 v8, 1, v8
	s_delay_alu instid0(VALU_DEP_2) | instskip(SKIP_2) | instid1(VALU_DEP_1)
	v_cmp_eq_u32_e32 vcc_lo, 0, v24
	s_waitcnt vmcnt(0)
	v_and_b32_e32 v25, 0xffff, v25
	v_lshlrev_b64 v[25:26], s0, v[25:26]
	s_add_u32 s0, s0, 8
	s_addc_u32 s1, s1, 0
	s_or_b32 s6, vcc_lo, s6
	s_delay_alu instid0(VALU_DEP_1) | instskip(NEXT) | instid1(VALU_DEP_2)
	v_or_b32_e32 v23, v26, v23
	v_or_b32_e32 v22, v25, v22
	s_and_not1_b32 exec_lo, exec_lo, s6
	s_cbranch_execnz .LBB1_82
; %bb.83:                               ;   in Loop: Header=BB1_31 Depth=1
	s_or_b32 exec_lo, exec_lo, s6
.LBB1_84:                               ;   in Loop: Header=BB1_31 Depth=1
	s_delay_alu instid0(SALU_CYCLE_1)
	s_or_b32 exec_lo, exec_lo, s5
                                        ; implicit-def: $vgpr8
.LBB1_85:                               ;   in Loop: Header=BB1_31 Depth=1
	s_and_not1_saveexec_b32 s0, s4
	s_cbranch_execz .LBB1_87
; %bb.86:                               ;   in Loop: Header=BB1_31 Depth=1
	scratch_load_b64 v[22:23], v8, off
	s_waitcnt vmcnt(0)
	v_and_b32_e32 v8, 0xff, v23
	v_and_b32_e32 v24, 0xff00, v23
	v_and_b32_e32 v25, 0xff0000, v23
	v_and_b32_e32 v23, 0xff000000, v23
	v_or3_b32 v22, v22, 0, 0
	s_delay_alu instid0(VALU_DEP_4) | instskip(NEXT) | instid1(VALU_DEP_1)
	v_or_b32_e32 v8, v8, v24
	v_or3_b32 v23, v8, v25, v23
.LBB1_87:                               ;   in Loop: Header=BB1_31 Depth=1
	s_or_b32 exec_lo, exec_lo, s0
	v_readfirstlane_b32 s0, v35
	v_mov_b32_e32 v32, 0
	v_mov_b32_e32 v33, 0
	s_delay_alu instid0(VALU_DEP_3) | instskip(NEXT) | instid1(VALU_DEP_1)
	v_cmp_eq_u32_e64 s0, s0, v35
	s_and_saveexec_b32 s1, s0
	s_cbranch_execz .LBB1_93
; %bb.88:                               ;   in Loop: Header=BB1_31 Depth=1
	global_load_b64 v[26:27], v9, s[2:3] offset:24 glc
	s_waitcnt vmcnt(0)
	buffer_gl1_inv
	buffer_gl0_inv
	s_clause 0x1
	global_load_b64 v[24:25], v9, s[2:3] offset:40
	global_load_b64 v[32:33], v9, s[2:3]
	s_mov_b32 s4, exec_lo
	s_waitcnt vmcnt(1)
	v_and_b32_e32 v8, v25, v27
	v_and_b32_e32 v24, v24, v26
	s_delay_alu instid0(VALU_DEP_2) | instskip(NEXT) | instid1(VALU_DEP_2)
	v_mul_lo_u32 v8, v8, 24
	v_mul_hi_u32 v25, v24, 24
	v_mul_lo_u32 v24, v24, 24
	s_delay_alu instid0(VALU_DEP_2) | instskip(SKIP_1) | instid1(VALU_DEP_2)
	v_add_nc_u32_e32 v8, v25, v8
	s_waitcnt vmcnt(0)
	v_add_co_u32 v24, vcc_lo, v32, v24
	s_delay_alu instid0(VALU_DEP_2)
	v_add_co_ci_u32_e32 v25, vcc_lo, v33, v8, vcc_lo
	global_load_b64 v[24:25], v[24:25], off glc
	s_waitcnt vmcnt(0)
	global_atomic_cmpswap_b64 v[32:33], v9, v[24:27], s[2:3] offset:24 glc
	s_waitcnt vmcnt(0)
	buffer_gl1_inv
	buffer_gl0_inv
	v_cmpx_ne_u64_e64 v[32:33], v[26:27]
	s_cbranch_execz .LBB1_92
; %bb.89:                               ;   in Loop: Header=BB1_31 Depth=1
	s_mov_b32 s5, 0
	.p2align	6
.LBB1_90:                               ;   Parent Loop BB1_31 Depth=1
                                        ; =>  This Inner Loop Header: Depth=2
	s_sleep 1
	s_clause 0x1
	global_load_b64 v[24:25], v9, s[2:3] offset:40
	global_load_b64 v[38:39], v9, s[2:3]
	v_dual_mov_b32 v26, v32 :: v_dual_mov_b32 v27, v33
	s_waitcnt vmcnt(1)
	s_delay_alu instid0(VALU_DEP_1) | instskip(SKIP_1) | instid1(VALU_DEP_1)
	v_and_b32_e32 v8, v24, v26
	s_waitcnt vmcnt(0)
	v_mad_u64_u32 v[32:33], null, v8, 24, v[38:39]
	v_and_b32_e32 v38, v25, v27
	s_delay_alu instid0(VALU_DEP_2) | instskip(NEXT) | instid1(VALU_DEP_1)
	v_mov_b32_e32 v8, v33
	v_mad_u64_u32 v[24:25], null, v38, 24, v[8:9]
	s_delay_alu instid0(VALU_DEP_1)
	v_mov_b32_e32 v33, v24
	global_load_b64 v[24:25], v[32:33], off glc
	s_waitcnt vmcnt(0)
	global_atomic_cmpswap_b64 v[32:33], v9, v[24:27], s[2:3] offset:24 glc
	s_waitcnt vmcnt(0)
	buffer_gl1_inv
	buffer_gl0_inv
	v_cmp_eq_u64_e32 vcc_lo, v[32:33], v[26:27]
	s_or_b32 s5, vcc_lo, s5
	s_delay_alu instid0(SALU_CYCLE_1)
	s_and_not1_b32 exec_lo, exec_lo, s5
	s_cbranch_execnz .LBB1_90
; %bb.91:                               ;   in Loop: Header=BB1_31 Depth=1
	s_or_b32 exec_lo, exec_lo, s5
.LBB1_92:                               ;   in Loop: Header=BB1_31 Depth=1
	s_delay_alu instid0(SALU_CYCLE_1)
	s_or_b32 exec_lo, exec_lo, s4
.LBB1_93:                               ;   in Loop: Header=BB1_31 Depth=1
	s_delay_alu instid0(SALU_CYCLE_1)
	s_or_b32 exec_lo, exec_lo, s1
	s_clause 0x1
	global_load_b64 v[38:39], v9, s[2:3] offset:40
	global_load_b128 v[24:27], v9, s[2:3]
	v_readfirstlane_b32 s4, v32
	v_readfirstlane_b32 s5, v33
	s_mov_b32 s1, exec_lo
	s_waitcnt vmcnt(1)
	v_readfirstlane_b32 s6, v38
	v_readfirstlane_b32 s7, v39
	s_delay_alu instid0(VALU_DEP_1) | instskip(NEXT) | instid1(SALU_CYCLE_1)
	s_and_b64 s[6:7], s[4:5], s[6:7]
	s_mul_i32 s12, s7, 24
	s_mul_hi_u32 s13, s6, 24
	s_mul_i32 s14, s6, 24
	s_add_i32 s13, s13, s12
	s_waitcnt vmcnt(0)
	v_add_co_u32 v32, vcc_lo, v24, s14
	v_add_co_ci_u32_e32 v33, vcc_lo, s13, v25, vcc_lo
	s_and_saveexec_b32 s12, s0
	s_cbranch_execz .LBB1_95
; %bb.94:                               ;   in Loop: Header=BB1_31 Depth=1
	v_mov_b32_e32 v8, s1
	global_store_b128 v[32:33], v[8:11], off offset:8
.LBB1_95:                               ;   in Loop: Header=BB1_31 Depth=1
	s_or_b32 exec_lo, exec_lo, s12
	v_cmp_lt_u64_e32 vcc_lo, 56, v[28:29]
	v_or_b32_e32 v8, 0, v1
	v_or_b32_e32 v38, v0, v36
	v_lshl_add_u32 v39, v30, 2, 28
	s_lshl_b64 s[6:7], s[6:7], 12
	s_delay_alu instid0(SALU_CYCLE_1) | instskip(NEXT) | instid1(VALU_DEP_1)
	v_add_co_u32 v26, s1, v26, s6
	v_add_co_ci_u32_e64 v27, s1, s7, v27, s1
	v_dual_cndmask_b32 v1, v8, v1 :: v_dual_cndmask_b32 v0, v38, v0
	v_and_b32_e32 v8, 0x1e0, v39
	s_delay_alu instid0(VALU_DEP_4) | instskip(NEXT) | instid1(VALU_DEP_4)
	v_readfirstlane_b32 s6, v26
	v_readfirstlane_b32 s7, v27
	s_delay_alu instid0(VALU_DEP_3)
	v_and_or_b32 v0, 0xffffff1f, v0, v8
	s_clause 0x3
	global_store_b128 v34, v[0:3], s[6:7]
	global_store_b128 v34, v[12:15], s[6:7] offset:16
	global_store_b128 v34, v[16:19], s[6:7] offset:32
	;; [unrolled: 1-line block ×3, first 2 shown]
	s_and_saveexec_b32 s1, s0
	s_cbranch_execz .LBB1_103
; %bb.96:                               ;   in Loop: Header=BB1_31 Depth=1
	s_clause 0x1
	global_load_b64 v[16:17], v9, s[2:3] offset:32 glc
	global_load_b64 v[0:1], v9, s[2:3] offset:40
	v_dual_mov_b32 v14, s4 :: v_dual_mov_b32 v15, s5
	s_waitcnt vmcnt(0)
	v_readfirstlane_b32 s6, v0
	v_readfirstlane_b32 s7, v1
	s_delay_alu instid0(VALU_DEP_1) | instskip(NEXT) | instid1(SALU_CYCLE_1)
	s_and_b64 s[6:7], s[6:7], s[4:5]
	s_mul_i32 s7, s7, 24
	s_mul_hi_u32 s12, s6, 24
	s_mul_i32 s6, s6, 24
	s_add_i32 s12, s12, s7
	v_add_co_u32 v12, vcc_lo, v24, s6
	v_add_co_ci_u32_e32 v13, vcc_lo, s12, v25, vcc_lo
	s_mov_b32 s6, exec_lo
	global_store_b64 v[12:13], v[16:17], off
	s_waitcnt_vscnt null, 0x0
	global_atomic_cmpswap_b64 v[2:3], v9, v[14:17], s[2:3] offset:32 glc
	s_waitcnt vmcnt(0)
	v_cmpx_ne_u64_e64 v[2:3], v[16:17]
	s_cbranch_execz .LBB1_99
; %bb.97:                               ;   in Loop: Header=BB1_31 Depth=1
	s_mov_b32 s7, 0
.LBB1_98:                               ;   Parent Loop BB1_31 Depth=1
                                        ; =>  This Inner Loop Header: Depth=2
	v_dual_mov_b32 v0, s4 :: v_dual_mov_b32 v1, s5
	s_sleep 1
	global_store_b64 v[12:13], v[2:3], off
	s_waitcnt_vscnt null, 0x0
	global_atomic_cmpswap_b64 v[0:1], v9, v[0:3], s[2:3] offset:32 glc
	s_waitcnt vmcnt(0)
	v_cmp_eq_u64_e32 vcc_lo, v[0:1], v[2:3]
	v_dual_mov_b32 v3, v1 :: v_dual_mov_b32 v2, v0
	s_or_b32 s7, vcc_lo, s7
	s_delay_alu instid0(SALU_CYCLE_1)
	s_and_not1_b32 exec_lo, exec_lo, s7
	s_cbranch_execnz .LBB1_98
.LBB1_99:                               ;   in Loop: Header=BB1_31 Depth=1
	s_or_b32 exec_lo, exec_lo, s6
	global_load_b64 v[0:1], v9, s[2:3] offset:16
	s_mov_b32 s7, exec_lo
	s_mov_b32 s6, exec_lo
	v_mbcnt_lo_u32_b32 v2, s7, 0
	s_delay_alu instid0(VALU_DEP_1)
	v_cmpx_eq_u32_e32 0, v2
	s_cbranch_execz .LBB1_101
; %bb.100:                              ;   in Loop: Header=BB1_31 Depth=1
	s_bcnt1_i32_b32 s7, s7
	s_delay_alu instid0(SALU_CYCLE_1)
	v_mov_b32_e32 v8, s7
	s_waitcnt vmcnt(0)
	global_atomic_add_u64 v[0:1], v[8:9], off offset:8
.LBB1_101:                              ;   in Loop: Header=BB1_31 Depth=1
	s_or_b32 exec_lo, exec_lo, s6
	s_waitcnt vmcnt(0)
	global_load_b64 v[2:3], v[0:1], off offset:16
	s_waitcnt vmcnt(0)
	v_cmp_eq_u64_e32 vcc_lo, 0, v[2:3]
	s_cbranch_vccnz .LBB1_103
; %bb.102:                              ;   in Loop: Header=BB1_31 Depth=1
	global_load_b32 v8, v[0:1], off offset:24
	s_waitcnt vmcnt(0)
	v_and_b32_e32 v0, 0xffffff, v8
	s_waitcnt_vscnt null, 0x0
	global_store_b64 v[2:3], v[8:9], off
	v_readfirstlane_b32 m0, v0
	s_sendmsg sendmsg(MSG_INTERRUPT)
.LBB1_103:                              ;   in Loop: Header=BB1_31 Depth=1
	s_or_b32 exec_lo, exec_lo, s1
	v_add_co_u32 v0, vcc_lo, v26, v34
	v_add_co_ci_u32_e32 v1, vcc_lo, 0, v27, vcc_lo
	s_branch .LBB1_107
	.p2align	6
.LBB1_104:                              ;   in Loop: Header=BB1_107 Depth=2
	s_or_b32 exec_lo, exec_lo, s1
	s_delay_alu instid0(VALU_DEP_1) | instskip(NEXT) | instid1(VALU_DEP_1)
	v_readfirstlane_b32 s1, v2
	s_cmp_eq_u32 s1, 0
	s_cbranch_scc1 .LBB1_106
; %bb.105:                              ;   in Loop: Header=BB1_107 Depth=2
	s_sleep 1
	s_cbranch_execnz .LBB1_107
	s_branch .LBB1_109
	.p2align	6
.LBB1_106:                              ;   in Loop: Header=BB1_31 Depth=1
	s_branch .LBB1_109
.LBB1_107:                              ;   Parent Loop BB1_31 Depth=1
                                        ; =>  This Inner Loop Header: Depth=2
	v_mov_b32_e32 v2, 1
	s_and_saveexec_b32 s1, s0
	s_cbranch_execz .LBB1_104
; %bb.108:                              ;   in Loop: Header=BB1_107 Depth=2
	global_load_b32 v2, v[32:33], off offset:20 glc
	s_waitcnt vmcnt(0)
	buffer_gl1_inv
	buffer_gl0_inv
	v_and_b32_e32 v2, 1, v2
	s_branch .LBB1_104
.LBB1_109:                              ;   in Loop: Header=BB1_31 Depth=1
	global_load_b128 v[0:3], v[0:1], off
	s_and_saveexec_b32 s1, s0
	s_cbranch_execz .LBB1_30
; %bb.110:                              ;   in Loop: Header=BB1_31 Depth=1
	s_clause 0x2
	global_load_b64 v[2:3], v9, s[2:3] offset:40
	global_load_b64 v[16:17], v9, s[2:3] offset:24 glc
	global_load_b64 v[14:15], v9, s[2:3]
	s_waitcnt vmcnt(2)
	v_add_co_u32 v8, vcc_lo, v2, 1
	v_add_co_ci_u32_e32 v18, vcc_lo, 0, v3, vcc_lo
	s_delay_alu instid0(VALU_DEP_2) | instskip(NEXT) | instid1(VALU_DEP_2)
	v_add_co_u32 v12, vcc_lo, v8, s4
	v_add_co_ci_u32_e32 v13, vcc_lo, s5, v18, vcc_lo
	s_delay_alu instid0(VALU_DEP_1) | instskip(SKIP_1) | instid1(VALU_DEP_1)
	v_cmp_eq_u64_e32 vcc_lo, 0, v[12:13]
	v_dual_cndmask_b32 v13, v13, v18 :: v_dual_cndmask_b32 v12, v12, v8
	v_and_b32_e32 v3, v13, v3
	s_delay_alu instid0(VALU_DEP_2) | instskip(NEXT) | instid1(VALU_DEP_1)
	v_and_b32_e32 v2, v12, v2
	v_mul_hi_u32 v8, v2, 24
	v_mul_lo_u32 v2, v2, 24
	s_waitcnt vmcnt(0)
	s_delay_alu instid0(VALU_DEP_1) | instskip(SKIP_2) | instid1(VALU_DEP_1)
	v_add_co_u32 v2, vcc_lo, v14, v2
	v_mov_b32_e32 v14, v16
	v_mul_lo_u32 v3, v3, 24
	v_add_nc_u32_e32 v3, v8, v3
	s_delay_alu instid0(VALU_DEP_1)
	v_add_co_ci_u32_e32 v3, vcc_lo, v15, v3, vcc_lo
	v_mov_b32_e32 v15, v17
	global_store_b64 v[2:3], v[16:17], off
	s_waitcnt_vscnt null, 0x0
	global_atomic_cmpswap_b64 v[14:15], v9, v[12:15], s[2:3] offset:24 glc
	s_waitcnt vmcnt(0)
	v_cmp_ne_u64_e32 vcc_lo, v[14:15], v[16:17]
	s_and_b32 exec_lo, exec_lo, vcc_lo
	s_cbranch_execz .LBB1_30
; %bb.111:                              ;   in Loop: Header=BB1_31 Depth=1
	s_mov_b32 s0, 0
.LBB1_112:                              ;   Parent Loop BB1_31 Depth=1
                                        ; =>  This Inner Loop Header: Depth=2
	s_sleep 1
	global_store_b64 v[2:3], v[14:15], off
	s_waitcnt_vscnt null, 0x0
	global_atomic_cmpswap_b64 v[16:17], v9, v[12:15], s[2:3] offset:24 glc
	s_waitcnt vmcnt(0)
	v_cmp_eq_u64_e32 vcc_lo, v[16:17], v[14:15]
	v_dual_mov_b32 v14, v16 :: v_dual_mov_b32 v15, v17
	s_or_b32 s0, vcc_lo, s0
	s_delay_alu instid0(SALU_CYCLE_1)
	s_and_not1_b32 exec_lo, exec_lo, s0
	s_cbranch_execnz .LBB1_112
	s_branch .LBB1_30
.LBB1_113:
                                        ; implicit-def: $vgpr0_vgpr1
	s_cbranch_execnz .LBB1_115
	s_branch .LBB1_142
.LBB1_114:
	s_or_b32 exec_lo, exec_lo, s10
	s_branch .LBB1_142
.LBB1_115:
	v_readfirstlane_b32 s0, v35
	v_mov_b32_e32 v9, 0
	v_mov_b32_e32 v10, 0
	s_delay_alu instid0(VALU_DEP_3) | instskip(NEXT) | instid1(VALU_DEP_1)
	v_cmp_eq_u32_e64 s0, s0, v35
	s_and_saveexec_b32 s1, s0
	s_cbranch_execz .LBB1_121
; %bb.116:
	s_waitcnt vmcnt(0)
	v_mov_b32_e32 v0, 0
	s_mov_b32 s4, exec_lo
	global_load_b64 v[11:12], v0, s[2:3] offset:24 glc
	s_waitcnt vmcnt(0)
	buffer_gl1_inv
	buffer_gl0_inv
	s_clause 0x1
	global_load_b64 v[1:2], v0, s[2:3] offset:40
	global_load_b64 v[8:9], v0, s[2:3]
	s_waitcnt vmcnt(1)
	v_and_b32_e32 v1, v1, v11
	v_and_b32_e32 v2, v2, v12
	s_delay_alu instid0(VALU_DEP_2) | instskip(NEXT) | instid1(VALU_DEP_2)
	v_mul_hi_u32 v3, v1, 24
	v_mul_lo_u32 v2, v2, 24
	v_mul_lo_u32 v1, v1, 24
	s_delay_alu instid0(VALU_DEP_2) | instskip(SKIP_1) | instid1(VALU_DEP_2)
	v_add_nc_u32_e32 v2, v3, v2
	s_waitcnt vmcnt(0)
	v_add_co_u32 v1, vcc_lo, v8, v1
	s_delay_alu instid0(VALU_DEP_2)
	v_add_co_ci_u32_e32 v2, vcc_lo, v9, v2, vcc_lo
	global_load_b64 v[9:10], v[1:2], off glc
	s_waitcnt vmcnt(0)
	global_atomic_cmpswap_b64 v[9:10], v0, v[9:12], s[2:3] offset:24 glc
	s_waitcnt vmcnt(0)
	buffer_gl1_inv
	buffer_gl0_inv
	v_cmpx_ne_u64_e64 v[9:10], v[11:12]
	s_cbranch_execz .LBB1_120
; %bb.117:
	s_mov_b32 s5, 0
	.p2align	6
.LBB1_118:                              ; =>This Inner Loop Header: Depth=1
	s_sleep 1
	s_clause 0x1
	global_load_b64 v[1:2], v0, s[2:3] offset:40
	global_load_b64 v[13:14], v0, s[2:3]
	v_dual_mov_b32 v12, v10 :: v_dual_mov_b32 v11, v9
	s_waitcnt vmcnt(1)
	s_delay_alu instid0(VALU_DEP_1) | instskip(SKIP_1) | instid1(VALU_DEP_1)
	v_and_b32_e32 v1, v1, v11
	s_waitcnt vmcnt(0)
	v_mad_u64_u32 v[8:9], null, v1, 24, v[13:14]
	s_delay_alu instid0(VALU_DEP_1) | instskip(NEXT) | instid1(VALU_DEP_1)
	v_dual_mov_b32 v1, v9 :: v_dual_and_b32 v10, v2, v12
	v_mad_u64_u32 v[2:3], null, v10, 24, v[1:2]
	s_delay_alu instid0(VALU_DEP_1)
	v_mov_b32_e32 v9, v2
	global_load_b64 v[9:10], v[8:9], off glc
	s_waitcnt vmcnt(0)
	global_atomic_cmpswap_b64 v[9:10], v0, v[9:12], s[2:3] offset:24 glc
	s_waitcnt vmcnt(0)
	buffer_gl1_inv
	buffer_gl0_inv
	v_cmp_eq_u64_e32 vcc_lo, v[9:10], v[11:12]
	s_or_b32 s5, vcc_lo, s5
	s_delay_alu instid0(SALU_CYCLE_1)
	s_and_not1_b32 exec_lo, exec_lo, s5
	s_cbranch_execnz .LBB1_118
; %bb.119:
	s_or_b32 exec_lo, exec_lo, s5
.LBB1_120:
	s_delay_alu instid0(SALU_CYCLE_1)
	s_or_b32 exec_lo, exec_lo, s4
.LBB1_121:
	s_delay_alu instid0(SALU_CYCLE_1)
	s_or_b32 exec_lo, exec_lo, s1
	v_mov_b32_e32 v8, 0
	v_readfirstlane_b32 s4, v9
	v_readfirstlane_b32 s5, v10
	s_mov_b32 s1, exec_lo
	s_clause 0x1
	global_load_b64 v[11:12], v8, s[2:3] offset:40
	global_load_b128 v[0:3], v8, s[2:3]
	s_waitcnt vmcnt(1)
	v_readfirstlane_b32 s6, v11
	v_readfirstlane_b32 s7, v12
	s_delay_alu instid0(VALU_DEP_1) | instskip(NEXT) | instid1(SALU_CYCLE_1)
	s_and_b64 s[6:7], s[4:5], s[6:7]
	s_mul_i32 s10, s7, 24
	s_mul_hi_u32 s11, s6, 24
	s_mul_i32 s12, s6, 24
	s_add_i32 s11, s11, s10
	s_waitcnt vmcnt(0)
	v_add_co_u32 v10, vcc_lo, v0, s12
	v_add_co_ci_u32_e32 v11, vcc_lo, s11, v1, vcc_lo
	s_and_saveexec_b32 s10, s0
	s_cbranch_execz .LBB1_123
; %bb.122:
	v_dual_mov_b32 v12, s1 :: v_dual_mov_b32 v13, v8
	v_dual_mov_b32 v14, 2 :: v_dual_mov_b32 v15, 1
	global_store_b128 v[10:11], v[12:15], off offset:8
.LBB1_123:
	s_or_b32 exec_lo, exec_lo, s10
	s_lshl_b64 s[6:7], s[6:7], 12
	s_mov_b32 s12, 0
	v_add_co_u32 v2, vcc_lo, v2, s6
	v_add_co_ci_u32_e32 v3, vcc_lo, s7, v3, vcc_lo
	s_mov_b32 s15, s12
	s_delay_alu instid0(VALU_DEP_2)
	v_add_co_u32 v12, vcc_lo, v2, v34
	s_mov_b32 s13, s12
	s_mov_b32 s14, s12
	v_and_or_b32 v6, 0xffffff1f, v6, 32
	v_mov_b32_e32 v9, v8
	v_readfirstlane_b32 s6, v2
	v_readfirstlane_b32 s7, v3
	v_dual_mov_b32 v17, s15 :: v_dual_mov_b32 v14, s12
	v_add_co_ci_u32_e32 v13, vcc_lo, 0, v3, vcc_lo
	v_dual_mov_b32 v16, s14 :: v_dual_mov_b32 v15, s13
	s_clause 0x3
	global_store_b128 v34, v[6:9], s[6:7]
	global_store_b128 v34, v[14:17], s[6:7] offset:16
	global_store_b128 v34, v[14:17], s[6:7] offset:32
	;; [unrolled: 1-line block ×3, first 2 shown]
	s_and_saveexec_b32 s1, s0
	s_cbranch_execz .LBB1_131
; %bb.124:
	v_dual_mov_b32 v8, 0 :: v_dual_mov_b32 v15, s5
	v_mov_b32_e32 v14, s4
	s_clause 0x1
	global_load_b64 v[16:17], v8, s[2:3] offset:32 glc
	global_load_b64 v[2:3], v8, s[2:3] offset:40
	s_waitcnt vmcnt(0)
	v_readfirstlane_b32 s6, v2
	v_readfirstlane_b32 s7, v3
	s_delay_alu instid0(VALU_DEP_1) | instskip(NEXT) | instid1(SALU_CYCLE_1)
	s_and_b64 s[6:7], s[6:7], s[4:5]
	s_mul_i32 s7, s7, 24
	s_mul_hi_u32 s10, s6, 24
	s_mul_i32 s6, s6, 24
	s_add_i32 s10, s10, s7
	v_add_co_u32 v6, vcc_lo, v0, s6
	v_add_co_ci_u32_e32 v7, vcc_lo, s10, v1, vcc_lo
	s_mov_b32 s6, exec_lo
	global_store_b64 v[6:7], v[16:17], off
	s_waitcnt_vscnt null, 0x0
	global_atomic_cmpswap_b64 v[2:3], v8, v[14:17], s[2:3] offset:32 glc
	s_waitcnt vmcnt(0)
	v_cmpx_ne_u64_e64 v[2:3], v[16:17]
	s_cbranch_execz .LBB1_127
; %bb.125:
	s_mov_b32 s7, 0
.LBB1_126:                              ; =>This Inner Loop Header: Depth=1
	v_dual_mov_b32 v0, s4 :: v_dual_mov_b32 v1, s5
	s_sleep 1
	global_store_b64 v[6:7], v[2:3], off
	s_waitcnt_vscnt null, 0x0
	global_atomic_cmpswap_b64 v[0:1], v8, v[0:3], s[2:3] offset:32 glc
	s_waitcnt vmcnt(0)
	v_cmp_eq_u64_e32 vcc_lo, v[0:1], v[2:3]
	v_dual_mov_b32 v3, v1 :: v_dual_mov_b32 v2, v0
	s_or_b32 s7, vcc_lo, s7
	s_delay_alu instid0(SALU_CYCLE_1)
	s_and_not1_b32 exec_lo, exec_lo, s7
	s_cbranch_execnz .LBB1_126
.LBB1_127:
	s_or_b32 exec_lo, exec_lo, s6
	v_mov_b32_e32 v3, 0
	s_mov_b32 s7, exec_lo
	s_mov_b32 s6, exec_lo
	v_mbcnt_lo_u32_b32 v2, s7, 0
	global_load_b64 v[0:1], v3, s[2:3] offset:16
	v_cmpx_eq_u32_e32 0, v2
	s_cbranch_execz .LBB1_129
; %bb.128:
	s_bcnt1_i32_b32 s7, s7
	s_delay_alu instid0(SALU_CYCLE_1)
	v_mov_b32_e32 v2, s7
	s_waitcnt vmcnt(0)
	global_atomic_add_u64 v[0:1], v[2:3], off offset:8
.LBB1_129:
	s_or_b32 exec_lo, exec_lo, s6
	s_waitcnt vmcnt(0)
	global_load_b64 v[2:3], v[0:1], off offset:16
	s_waitcnt vmcnt(0)
	v_cmp_eq_u64_e32 vcc_lo, 0, v[2:3]
	s_cbranch_vccnz .LBB1_131
; %bb.130:
	global_load_b32 v0, v[0:1], off offset:24
	s_waitcnt vmcnt(0)
	v_dual_mov_b32 v1, 0 :: v_dual_and_b32 v6, 0xffffff, v0
	s_waitcnt_vscnt null, 0x0
	global_store_b64 v[2:3], v[0:1], off
	v_readfirstlane_b32 m0, v6
	s_sendmsg sendmsg(MSG_INTERRUPT)
.LBB1_131:
	s_or_b32 exec_lo, exec_lo, s1
	s_branch .LBB1_135
	.p2align	6
.LBB1_132:                              ;   in Loop: Header=BB1_135 Depth=1
	s_or_b32 exec_lo, exec_lo, s1
	s_delay_alu instid0(VALU_DEP_1) | instskip(NEXT) | instid1(VALU_DEP_1)
	v_readfirstlane_b32 s1, v0
	s_cmp_eq_u32 s1, 0
	s_cbranch_scc1 .LBB1_134
; %bb.133:                              ;   in Loop: Header=BB1_135 Depth=1
	s_sleep 1
	s_cbranch_execnz .LBB1_135
	s_branch .LBB1_137
	.p2align	6
.LBB1_134:
	s_branch .LBB1_137
.LBB1_135:                              ; =>This Inner Loop Header: Depth=1
	v_mov_b32_e32 v0, 1
	s_and_saveexec_b32 s1, s0
	s_cbranch_execz .LBB1_132
; %bb.136:                              ;   in Loop: Header=BB1_135 Depth=1
	global_load_b32 v0, v[10:11], off offset:20 glc
	s_waitcnt vmcnt(0)
	buffer_gl1_inv
	buffer_gl0_inv
	v_and_b32_e32 v0, 1, v0
	s_branch .LBB1_132
.LBB1_137:
	global_load_b64 v[0:1], v[12:13], off
	s_and_saveexec_b32 s1, s0
	s_cbranch_execz .LBB1_141
; %bb.138:
	v_mov_b32_e32 v10, 0
	s_clause 0x2
	global_load_b64 v[2:3], v10, s[2:3] offset:40
	global_load_b64 v[11:12], v10, s[2:3] offset:24 glc
	global_load_b64 v[8:9], v10, s[2:3]
	s_waitcnt vmcnt(2)
	v_add_co_u32 v13, vcc_lo, v2, 1
	v_add_co_ci_u32_e32 v14, vcc_lo, 0, v3, vcc_lo
	s_delay_alu instid0(VALU_DEP_2) | instskip(NEXT) | instid1(VALU_DEP_2)
	v_add_co_u32 v6, vcc_lo, v13, s4
	v_add_co_ci_u32_e32 v7, vcc_lo, s5, v14, vcc_lo
	s_delay_alu instid0(VALU_DEP_1) | instskip(SKIP_1) | instid1(VALU_DEP_1)
	v_cmp_eq_u64_e32 vcc_lo, 0, v[6:7]
	v_dual_cndmask_b32 v7, v7, v14 :: v_dual_cndmask_b32 v6, v6, v13
	v_and_b32_e32 v3, v7, v3
	s_delay_alu instid0(VALU_DEP_2) | instskip(NEXT) | instid1(VALU_DEP_2)
	v_and_b32_e32 v2, v6, v2
	v_mul_lo_u32 v3, v3, 24
	s_delay_alu instid0(VALU_DEP_2) | instskip(SKIP_1) | instid1(VALU_DEP_2)
	v_mul_hi_u32 v13, v2, 24
	v_mul_lo_u32 v2, v2, 24
	v_add_nc_u32_e32 v3, v13, v3
	s_waitcnt vmcnt(0)
	s_delay_alu instid0(VALU_DEP_2) | instskip(SKIP_1) | instid1(VALU_DEP_3)
	v_add_co_u32 v2, vcc_lo, v8, v2
	v_mov_b32_e32 v8, v11
	v_add_co_ci_u32_e32 v3, vcc_lo, v9, v3, vcc_lo
	v_mov_b32_e32 v9, v12
	global_store_b64 v[2:3], v[11:12], off
	s_waitcnt_vscnt null, 0x0
	global_atomic_cmpswap_b64 v[8:9], v10, v[6:9], s[2:3] offset:24 glc
	s_waitcnt vmcnt(0)
	v_cmp_ne_u64_e32 vcc_lo, v[8:9], v[11:12]
	s_and_b32 exec_lo, exec_lo, vcc_lo
	s_cbranch_execz .LBB1_141
; %bb.139:
	s_mov_b32 s0, 0
.LBB1_140:                              ; =>This Inner Loop Header: Depth=1
	s_sleep 1
	global_store_b64 v[2:3], v[8:9], off
	s_waitcnt_vscnt null, 0x0
	global_atomic_cmpswap_b64 v[11:12], v10, v[6:9], s[2:3] offset:24 glc
	s_waitcnt vmcnt(0)
	v_cmp_eq_u64_e32 vcc_lo, v[11:12], v[8:9]
	v_dual_mov_b32 v8, v11 :: v_dual_mov_b32 v9, v12
	s_or_b32 s0, vcc_lo, s0
	s_delay_alu instid0(SALU_CYCLE_1)
	s_and_not1_b32 exec_lo, exec_lo, s0
	s_cbranch_execnz .LBB1_140
.LBB1_141:
	s_or_b32 exec_lo, exec_lo, s1
.LBB1_142:
	s_getpc_b64 s[4:5]
	s_add_u32 s4, s4, .str.2@rel32@lo+4
	s_addc_u32 s5, s5, .str.2@rel32@hi+12
	s_delay_alu instid0(SALU_CYCLE_1)
	s_cmp_lg_u64 s[4:5], 0
	s_cbranch_scc0 .LBB1_220
; %bb.143:
	s_getpc_b64 s[0:1]
	s_add_u32 s0, s0, .str.2@rel32@lo+80
	s_addc_u32 s1, s1, .str.2@rel32@hi+88
	s_waitcnt vmcnt(0)
	v_dual_mov_b32 v10, 0 :: v_dual_and_b32 v33, 2, v0
	v_dual_mov_b32 v7, v1 :: v_dual_and_b32 v6, -3, v0
	v_dual_mov_b32 v11, 2 :: v_dual_mov_b32 v12, 1
	s_sub_i32 s6, s0, s4
	s_delay_alu instid0(SALU_CYCLE_1)
	s_ashr_i32 s7, s6, 31
	s_branch .LBB1_145
.LBB1_144:                              ;   in Loop: Header=BB1_145 Depth=1
	s_or_b32 exec_lo, exec_lo, s1
	s_sub_u32 s6, s6, s10
	s_subb_u32 s7, s7, s11
	s_add_u32 s4, s4, s10
	s_addc_u32 s5, s5, s11
	s_cmp_lg_u64 s[6:7], 0
	s_cbranch_scc0 .LBB1_221
.LBB1_145:                              ; =>This Loop Header: Depth=1
                                        ;     Child Loop BB1_154 Depth 2
                                        ;     Child Loop BB1_150 Depth 2
                                        ;     Child Loop BB1_162 Depth 2
                                        ;     Child Loop BB1_169 Depth 2
                                        ;     Child Loop BB1_176 Depth 2
                                        ;     Child Loop BB1_183 Depth 2
                                        ;     Child Loop BB1_190 Depth 2
                                        ;     Child Loop BB1_197 Depth 2
                                        ;     Child Loop BB1_205 Depth 2
                                        ;     Child Loop BB1_214 Depth 2
                                        ;     Child Loop BB1_219 Depth 2
	v_cmp_lt_u64_e64 s0, s[6:7], 56
	v_cmp_gt_u64_e64 s1, s[6:7], 7
                                        ; implicit-def: $vgpr15_vgpr16
                                        ; implicit-def: $sgpr16
	s_delay_alu instid0(VALU_DEP_2) | instskip(SKIP_2) | instid1(VALU_DEP_1)
	s_and_b32 s0, s0, exec_lo
	s_cselect_b32 s11, s7, 0
	s_cselect_b32 s10, s6, 56
	s_and_b32 vcc_lo, exec_lo, s1
	s_mov_b32 s0, -1
	s_cbranch_vccz .LBB1_152
; %bb.146:                              ;   in Loop: Header=BB1_145 Depth=1
	s_and_not1_b32 vcc_lo, exec_lo, s0
	s_mov_b64 s[0:1], s[4:5]
	s_cbranch_vccz .LBB1_156
.LBB1_147:                              ;   in Loop: Header=BB1_145 Depth=1
	s_cmp_gt_u32 s16, 7
	s_cbranch_scc1 .LBB1_157
.LBB1_148:                              ;   in Loop: Header=BB1_145 Depth=1
	v_mov_b32_e32 v17, 0
	v_mov_b32_e32 v18, 0
	s_cmp_eq_u32 s16, 0
	s_cbranch_scc1 .LBB1_151
; %bb.149:                              ;   in Loop: Header=BB1_145 Depth=1
	s_mov_b64 s[12:13], 0
	s_mov_b64 s[14:15], 0
.LBB1_150:                              ;   Parent Loop BB1_145 Depth=1
                                        ; =>  This Inner Loop Header: Depth=2
	s_delay_alu instid0(SALU_CYCLE_1)
	s_add_u32 s18, s0, s14
	s_addc_u32 s19, s1, s15
	s_add_u32 s14, s14, 1
	global_load_u8 v2, v10, s[18:19]
	s_addc_u32 s15, s15, 0
	s_waitcnt vmcnt(0)
	v_and_b32_e32 v9, 0xffff, v2
	s_delay_alu instid0(VALU_DEP_1) | instskip(SKIP_3) | instid1(VALU_DEP_1)
	v_lshlrev_b64 v[2:3], s12, v[9:10]
	s_add_u32 s12, s12, 8
	s_addc_u32 s13, s13, 0
	s_cmp_lg_u32 s16, s14
	v_or_b32_e32 v17, v2, v17
	s_delay_alu instid0(VALU_DEP_2)
	v_or_b32_e32 v18, v3, v18
	s_cbranch_scc1 .LBB1_150
.LBB1_151:                              ;   in Loop: Header=BB1_145 Depth=1
	s_mov_b32 s17, 0
	s_cbranch_execz .LBB1_158
	s_branch .LBB1_159
.LBB1_152:                              ;   in Loop: Header=BB1_145 Depth=1
	v_mov_b32_e32 v15, 0
	v_mov_b32_e32 v16, 0
	s_cmp_eq_u64 s[6:7], 0
	s_mov_b64 s[0:1], 0
	s_cbranch_scc1 .LBB1_155
; %bb.153:                              ;   in Loop: Header=BB1_145 Depth=1
	v_mov_b32_e32 v15, 0
	v_mov_b32_e32 v16, 0
	s_lshl_b64 s[12:13], s[10:11], 3
	s_mov_b64 s[14:15], s[4:5]
.LBB1_154:                              ;   Parent Loop BB1_145 Depth=1
                                        ; =>  This Inner Loop Header: Depth=2
	global_load_u8 v2, v10, s[14:15]
	s_waitcnt vmcnt(0)
	v_and_b32_e32 v9, 0xffff, v2
	s_delay_alu instid0(VALU_DEP_1)
	v_lshlrev_b64 v[2:3], s0, v[9:10]
	s_add_u32 s0, s0, 8
	s_addc_u32 s1, s1, 0
	s_add_u32 s14, s14, 1
	s_addc_u32 s15, s15, 0
	s_cmp_lg_u32 s12, s0
	v_or_b32_e32 v15, v2, v15
	v_or_b32_e32 v16, v3, v16
	s_cbranch_scc1 .LBB1_154
.LBB1_155:                              ;   in Loop: Header=BB1_145 Depth=1
	s_mov_b32 s16, 0
	s_mov_b64 s[0:1], s[4:5]
	s_cbranch_execnz .LBB1_147
.LBB1_156:                              ;   in Loop: Header=BB1_145 Depth=1
	global_load_b64 v[15:16], v10, s[4:5]
	s_add_i32 s16, s10, -8
	s_add_u32 s0, s4, 8
	s_addc_u32 s1, s5, 0
	s_cmp_gt_u32 s16, 7
	s_cbranch_scc0 .LBB1_148
.LBB1_157:                              ;   in Loop: Header=BB1_145 Depth=1
                                        ; implicit-def: $vgpr17_vgpr18
                                        ; implicit-def: $sgpr17
.LBB1_158:                              ;   in Loop: Header=BB1_145 Depth=1
	global_load_b64 v[17:18], v10, s[0:1]
	s_add_i32 s17, s16, -8
	s_add_u32 s0, s0, 8
	s_addc_u32 s1, s1, 0
.LBB1_159:                              ;   in Loop: Header=BB1_145 Depth=1
	s_cmp_gt_u32 s17, 7
	s_cbranch_scc1 .LBB1_164
; %bb.160:                              ;   in Loop: Header=BB1_145 Depth=1
	v_mov_b32_e32 v19, 0
	v_mov_b32_e32 v20, 0
	s_cmp_eq_u32 s17, 0
	s_cbranch_scc1 .LBB1_163
; %bb.161:                              ;   in Loop: Header=BB1_145 Depth=1
	s_mov_b64 s[12:13], 0
	s_mov_b64 s[14:15], 0
.LBB1_162:                              ;   Parent Loop BB1_145 Depth=1
                                        ; =>  This Inner Loop Header: Depth=2
	s_delay_alu instid0(SALU_CYCLE_1)
	s_add_u32 s18, s0, s14
	s_addc_u32 s19, s1, s15
	s_add_u32 s14, s14, 1
	global_load_u8 v2, v10, s[18:19]
	s_addc_u32 s15, s15, 0
	s_waitcnt vmcnt(0)
	v_and_b32_e32 v9, 0xffff, v2
	s_delay_alu instid0(VALU_DEP_1) | instskip(SKIP_3) | instid1(VALU_DEP_1)
	v_lshlrev_b64 v[2:3], s12, v[9:10]
	s_add_u32 s12, s12, 8
	s_addc_u32 s13, s13, 0
	s_cmp_lg_u32 s17, s14
	v_or_b32_e32 v19, v2, v19
	s_delay_alu instid0(VALU_DEP_2)
	v_or_b32_e32 v20, v3, v20
	s_cbranch_scc1 .LBB1_162
.LBB1_163:                              ;   in Loop: Header=BB1_145 Depth=1
	s_mov_b32 s16, 0
	s_cbranch_execz .LBB1_165
	s_branch .LBB1_166
.LBB1_164:                              ;   in Loop: Header=BB1_145 Depth=1
                                        ; implicit-def: $sgpr16
.LBB1_165:                              ;   in Loop: Header=BB1_145 Depth=1
	global_load_b64 v[19:20], v10, s[0:1]
	s_add_i32 s16, s17, -8
	s_add_u32 s0, s0, 8
	s_addc_u32 s1, s1, 0
.LBB1_166:                              ;   in Loop: Header=BB1_145 Depth=1
	s_cmp_gt_u32 s16, 7
	s_cbranch_scc1 .LBB1_171
; %bb.167:                              ;   in Loop: Header=BB1_145 Depth=1
	v_mov_b32_e32 v21, 0
	v_mov_b32_e32 v22, 0
	s_cmp_eq_u32 s16, 0
	s_cbranch_scc1 .LBB1_170
; %bb.168:                              ;   in Loop: Header=BB1_145 Depth=1
	s_mov_b64 s[12:13], 0
	s_mov_b64 s[14:15], 0
.LBB1_169:                              ;   Parent Loop BB1_145 Depth=1
                                        ; =>  This Inner Loop Header: Depth=2
	s_delay_alu instid0(SALU_CYCLE_1)
	s_add_u32 s18, s0, s14
	s_addc_u32 s19, s1, s15
	s_add_u32 s14, s14, 1
	global_load_u8 v2, v10, s[18:19]
	s_addc_u32 s15, s15, 0
	s_waitcnt vmcnt(0)
	v_and_b32_e32 v9, 0xffff, v2
	s_delay_alu instid0(VALU_DEP_1) | instskip(SKIP_3) | instid1(VALU_DEP_1)
	v_lshlrev_b64 v[2:3], s12, v[9:10]
	s_add_u32 s12, s12, 8
	s_addc_u32 s13, s13, 0
	s_cmp_lg_u32 s16, s14
	v_or_b32_e32 v21, v2, v21
	s_delay_alu instid0(VALU_DEP_2)
	v_or_b32_e32 v22, v3, v22
	s_cbranch_scc1 .LBB1_169
.LBB1_170:                              ;   in Loop: Header=BB1_145 Depth=1
	s_mov_b32 s17, 0
	s_cbranch_execz .LBB1_172
	s_branch .LBB1_173
.LBB1_171:                              ;   in Loop: Header=BB1_145 Depth=1
                                        ; implicit-def: $vgpr21_vgpr22
                                        ; implicit-def: $sgpr17
.LBB1_172:                              ;   in Loop: Header=BB1_145 Depth=1
	global_load_b64 v[21:22], v10, s[0:1]
	s_add_i32 s17, s16, -8
	s_add_u32 s0, s0, 8
	s_addc_u32 s1, s1, 0
.LBB1_173:                              ;   in Loop: Header=BB1_145 Depth=1
	s_cmp_gt_u32 s17, 7
	s_cbranch_scc1 .LBB1_178
; %bb.174:                              ;   in Loop: Header=BB1_145 Depth=1
	v_mov_b32_e32 v23, 0
	v_mov_b32_e32 v24, 0
	s_cmp_eq_u32 s17, 0
	s_cbranch_scc1 .LBB1_177
; %bb.175:                              ;   in Loop: Header=BB1_145 Depth=1
	s_mov_b64 s[12:13], 0
	s_mov_b64 s[14:15], 0
.LBB1_176:                              ;   Parent Loop BB1_145 Depth=1
                                        ; =>  This Inner Loop Header: Depth=2
	s_delay_alu instid0(SALU_CYCLE_1)
	s_add_u32 s18, s0, s14
	s_addc_u32 s19, s1, s15
	s_add_u32 s14, s14, 1
	global_load_u8 v2, v10, s[18:19]
	s_addc_u32 s15, s15, 0
	s_waitcnt vmcnt(0)
	v_and_b32_e32 v9, 0xffff, v2
	s_delay_alu instid0(VALU_DEP_1) | instskip(SKIP_3) | instid1(VALU_DEP_1)
	v_lshlrev_b64 v[2:3], s12, v[9:10]
	s_add_u32 s12, s12, 8
	s_addc_u32 s13, s13, 0
	s_cmp_lg_u32 s17, s14
	v_or_b32_e32 v23, v2, v23
	s_delay_alu instid0(VALU_DEP_2)
	v_or_b32_e32 v24, v3, v24
	s_cbranch_scc1 .LBB1_176
.LBB1_177:                              ;   in Loop: Header=BB1_145 Depth=1
	s_mov_b32 s16, 0
	s_cbranch_execz .LBB1_179
	s_branch .LBB1_180
.LBB1_178:                              ;   in Loop: Header=BB1_145 Depth=1
                                        ; implicit-def: $sgpr16
.LBB1_179:                              ;   in Loop: Header=BB1_145 Depth=1
	global_load_b64 v[23:24], v10, s[0:1]
	s_add_i32 s16, s17, -8
	s_add_u32 s0, s0, 8
	s_addc_u32 s1, s1, 0
.LBB1_180:                              ;   in Loop: Header=BB1_145 Depth=1
	s_cmp_gt_u32 s16, 7
	s_cbranch_scc1 .LBB1_185
; %bb.181:                              ;   in Loop: Header=BB1_145 Depth=1
	v_mov_b32_e32 v25, 0
	v_mov_b32_e32 v26, 0
	s_cmp_eq_u32 s16, 0
	s_cbranch_scc1 .LBB1_184
; %bb.182:                              ;   in Loop: Header=BB1_145 Depth=1
	s_mov_b64 s[12:13], 0
	s_mov_b64 s[14:15], 0
.LBB1_183:                              ;   Parent Loop BB1_145 Depth=1
                                        ; =>  This Inner Loop Header: Depth=2
	s_delay_alu instid0(SALU_CYCLE_1)
	s_add_u32 s18, s0, s14
	s_addc_u32 s19, s1, s15
	s_add_u32 s14, s14, 1
	global_load_u8 v2, v10, s[18:19]
	s_addc_u32 s15, s15, 0
	s_waitcnt vmcnt(0)
	v_and_b32_e32 v9, 0xffff, v2
	s_delay_alu instid0(VALU_DEP_1) | instskip(SKIP_3) | instid1(VALU_DEP_1)
	v_lshlrev_b64 v[2:3], s12, v[9:10]
	s_add_u32 s12, s12, 8
	s_addc_u32 s13, s13, 0
	s_cmp_lg_u32 s16, s14
	v_or_b32_e32 v25, v2, v25
	s_delay_alu instid0(VALU_DEP_2)
	v_or_b32_e32 v26, v3, v26
	s_cbranch_scc1 .LBB1_183
.LBB1_184:                              ;   in Loop: Header=BB1_145 Depth=1
	s_mov_b32 s17, 0
	s_cbranch_execz .LBB1_186
	s_branch .LBB1_187
.LBB1_185:                              ;   in Loop: Header=BB1_145 Depth=1
                                        ; implicit-def: $vgpr25_vgpr26
                                        ; implicit-def: $sgpr17
.LBB1_186:                              ;   in Loop: Header=BB1_145 Depth=1
	global_load_b64 v[25:26], v10, s[0:1]
	s_add_i32 s17, s16, -8
	s_add_u32 s0, s0, 8
	s_addc_u32 s1, s1, 0
.LBB1_187:                              ;   in Loop: Header=BB1_145 Depth=1
	s_cmp_gt_u32 s17, 7
	s_cbranch_scc1 .LBB1_192
; %bb.188:                              ;   in Loop: Header=BB1_145 Depth=1
	v_mov_b32_e32 v27, 0
	v_mov_b32_e32 v28, 0
	s_cmp_eq_u32 s17, 0
	s_cbranch_scc1 .LBB1_191
; %bb.189:                              ;   in Loop: Header=BB1_145 Depth=1
	s_mov_b64 s[12:13], 0
	s_mov_b64 s[14:15], s[0:1]
.LBB1_190:                              ;   Parent Loop BB1_145 Depth=1
                                        ; =>  This Inner Loop Header: Depth=2
	global_load_u8 v2, v10, s[14:15]
	s_add_i32 s17, s17, -1
	s_waitcnt vmcnt(0)
	v_and_b32_e32 v9, 0xffff, v2
	s_delay_alu instid0(VALU_DEP_1)
	v_lshlrev_b64 v[2:3], s12, v[9:10]
	s_add_u32 s12, s12, 8
	s_addc_u32 s13, s13, 0
	s_add_u32 s14, s14, 1
	s_addc_u32 s15, s15, 0
	s_cmp_lg_u32 s17, 0
	v_or_b32_e32 v27, v2, v27
	v_or_b32_e32 v28, v3, v28
	s_cbranch_scc1 .LBB1_190
.LBB1_191:                              ;   in Loop: Header=BB1_145 Depth=1
	s_cbranch_execz .LBB1_193
	s_branch .LBB1_194
.LBB1_192:                              ;   in Loop: Header=BB1_145 Depth=1
.LBB1_193:                              ;   in Loop: Header=BB1_145 Depth=1
	global_load_b64 v[27:28], v10, s[0:1]
.LBB1_194:                              ;   in Loop: Header=BB1_145 Depth=1
	v_readfirstlane_b32 s0, v35
	v_mov_b32_e32 v2, 0
	v_mov_b32_e32 v3, 0
	s_delay_alu instid0(VALU_DEP_3) | instskip(NEXT) | instid1(VALU_DEP_1)
	v_cmp_eq_u32_e64 s0, s0, v35
	s_and_saveexec_b32 s1, s0
	s_cbranch_execz .LBB1_200
; %bb.195:                              ;   in Loop: Header=BB1_145 Depth=1
	global_load_b64 v[31:32], v10, s[2:3] offset:24 glc
	s_waitcnt vmcnt(0)
	buffer_gl1_inv
	buffer_gl0_inv
	s_clause 0x1
	global_load_b64 v[2:3], v10, s[2:3] offset:40
	global_load_b64 v[8:9], v10, s[2:3]
	s_mov_b32 s12, exec_lo
	s_waitcnt vmcnt(1)
	v_and_b32_e32 v3, v3, v32
	v_and_b32_e32 v2, v2, v31
	s_delay_alu instid0(VALU_DEP_2) | instskip(NEXT) | instid1(VALU_DEP_2)
	v_mul_lo_u32 v3, v3, 24
	v_mul_hi_u32 v13, v2, 24
	v_mul_lo_u32 v2, v2, 24
	s_delay_alu instid0(VALU_DEP_2) | instskip(SKIP_1) | instid1(VALU_DEP_2)
	v_add_nc_u32_e32 v3, v13, v3
	s_waitcnt vmcnt(0)
	v_add_co_u32 v2, vcc_lo, v8, v2
	s_delay_alu instid0(VALU_DEP_2)
	v_add_co_ci_u32_e32 v3, vcc_lo, v9, v3, vcc_lo
	global_load_b64 v[29:30], v[2:3], off glc
	s_waitcnt vmcnt(0)
	global_atomic_cmpswap_b64 v[2:3], v10, v[29:32], s[2:3] offset:24 glc
	s_waitcnt vmcnt(0)
	buffer_gl1_inv
	buffer_gl0_inv
	v_cmpx_ne_u64_e64 v[2:3], v[31:32]
	s_cbranch_execz .LBB1_199
; %bb.196:                              ;   in Loop: Header=BB1_145 Depth=1
	s_mov_b32 s13, 0
	.p2align	6
.LBB1_197:                              ;   Parent Loop BB1_145 Depth=1
                                        ; =>  This Inner Loop Header: Depth=2
	s_sleep 1
	s_clause 0x1
	global_load_b64 v[8:9], v10, s[2:3] offset:40
	global_load_b64 v[13:14], v10, s[2:3]
	v_dual_mov_b32 v32, v3 :: v_dual_mov_b32 v31, v2
	s_waitcnt vmcnt(1)
	s_delay_alu instid0(VALU_DEP_1) | instskip(SKIP_1) | instid1(VALU_DEP_1)
	v_and_b32_e32 v8, v8, v31
	s_waitcnt vmcnt(0)
	v_mad_u64_u32 v[2:3], null, v8, 24, v[13:14]
	v_and_b32_e32 v13, v9, v32
	s_delay_alu instid0(VALU_DEP_1) | instskip(NEXT) | instid1(VALU_DEP_1)
	v_mad_u64_u32 v[8:9], null, v13, 24, v[3:4]
	v_mov_b32_e32 v3, v8
	global_load_b64 v[29:30], v[2:3], off glc
	s_waitcnt vmcnt(0)
	global_atomic_cmpswap_b64 v[2:3], v10, v[29:32], s[2:3] offset:24 glc
	s_waitcnt vmcnt(0)
	buffer_gl1_inv
	buffer_gl0_inv
	v_cmp_eq_u64_e32 vcc_lo, v[2:3], v[31:32]
	s_or_b32 s13, vcc_lo, s13
	s_delay_alu instid0(SALU_CYCLE_1)
	s_and_not1_b32 exec_lo, exec_lo, s13
	s_cbranch_execnz .LBB1_197
; %bb.198:                              ;   in Loop: Header=BB1_145 Depth=1
	s_or_b32 exec_lo, exec_lo, s13
.LBB1_199:                              ;   in Loop: Header=BB1_145 Depth=1
	s_delay_alu instid0(SALU_CYCLE_1)
	s_or_b32 exec_lo, exec_lo, s12
.LBB1_200:                              ;   in Loop: Header=BB1_145 Depth=1
	s_delay_alu instid0(SALU_CYCLE_1)
	s_or_b32 exec_lo, exec_lo, s1
	s_clause 0x1
	global_load_b64 v[8:9], v10, s[2:3] offset:40
	global_load_b128 v[29:32], v10, s[2:3]
	v_readfirstlane_b32 s12, v2
	v_readfirstlane_b32 s13, v3
	s_mov_b32 s1, exec_lo
	s_waitcnt vmcnt(1)
	v_readfirstlane_b32 s14, v8
	v_readfirstlane_b32 s15, v9
	s_delay_alu instid0(VALU_DEP_1) | instskip(NEXT) | instid1(SALU_CYCLE_1)
	s_and_b64 s[14:15], s[12:13], s[14:15]
	s_mul_i32 s16, s15, 24
	s_mul_hi_u32 s17, s14, 24
	s_mul_i32 s18, s14, 24
	s_add_i32 s17, s17, s16
	s_waitcnt vmcnt(0)
	v_add_co_u32 v2, vcc_lo, v29, s18
	v_add_co_ci_u32_e32 v3, vcc_lo, s17, v30, vcc_lo
	s_and_saveexec_b32 s16, s0
	s_cbranch_execz .LBB1_202
; %bb.201:                              ;   in Loop: Header=BB1_145 Depth=1
	v_mov_b32_e32 v9, s1
	global_store_b128 v[2:3], v[9:12], off offset:8
.LBB1_202:                              ;   in Loop: Header=BB1_145 Depth=1
	s_or_b32 exec_lo, exec_lo, s16
	s_lshl_b64 s[14:15], s[14:15], 12
	v_cmp_gt_u64_e64 vcc_lo, s[6:7], 56
	v_or_b32_e32 v9, v6, v33
	v_add_co_u32 v31, s1, v31, s14
	s_delay_alu instid0(VALU_DEP_1)
	v_add_co_ci_u32_e64 v32, s1, s15, v32, s1
	s_lshl_b32 s1, s10, 2
	v_or_b32_e32 v8, 0, v7
	v_cndmask_b32_e32 v6, v9, v6, vcc_lo
	s_add_i32 s1, s1, 28
	v_readfirstlane_b32 s14, v31
	s_and_b32 s1, s1, 0x1e0
	v_cndmask_b32_e32 v14, v8, v7, vcc_lo
	v_readfirstlane_b32 s15, v32
	v_and_or_b32 v13, 0xffffff1f, v6, s1
	s_clause 0x3
	global_store_b128 v34, v[13:16], s[14:15]
	global_store_b128 v34, v[17:20], s[14:15] offset:16
	global_store_b128 v34, v[21:24], s[14:15] offset:32
	;; [unrolled: 1-line block ×3, first 2 shown]
	s_and_saveexec_b32 s1, s0
	s_cbranch_execz .LBB1_210
; %bb.203:                              ;   in Loop: Header=BB1_145 Depth=1
	s_clause 0x1
	global_load_b64 v[17:18], v10, s[2:3] offset:32 glc
	global_load_b64 v[6:7], v10, s[2:3] offset:40
	v_dual_mov_b32 v15, s12 :: v_dual_mov_b32 v16, s13
	s_waitcnt vmcnt(0)
	v_readfirstlane_b32 s14, v6
	v_readfirstlane_b32 s15, v7
	s_delay_alu instid0(VALU_DEP_1) | instskip(NEXT) | instid1(SALU_CYCLE_1)
	s_and_b64 s[14:15], s[14:15], s[12:13]
	s_mul_i32 s15, s15, 24
	s_mul_hi_u32 s16, s14, 24
	s_mul_i32 s14, s14, 24
	s_add_i32 s16, s16, s15
	v_add_co_u32 v13, vcc_lo, v29, s14
	v_add_co_ci_u32_e32 v14, vcc_lo, s16, v30, vcc_lo
	s_mov_b32 s14, exec_lo
	global_store_b64 v[13:14], v[17:18], off
	s_waitcnt_vscnt null, 0x0
	global_atomic_cmpswap_b64 v[8:9], v10, v[15:18], s[2:3] offset:32 glc
	s_waitcnt vmcnt(0)
	v_cmpx_ne_u64_e64 v[8:9], v[17:18]
	s_cbranch_execz .LBB1_206
; %bb.204:                              ;   in Loop: Header=BB1_145 Depth=1
	s_mov_b32 s15, 0
.LBB1_205:                              ;   Parent Loop BB1_145 Depth=1
                                        ; =>  This Inner Loop Header: Depth=2
	v_dual_mov_b32 v6, s12 :: v_dual_mov_b32 v7, s13
	s_sleep 1
	global_store_b64 v[13:14], v[8:9], off
	s_waitcnt_vscnt null, 0x0
	global_atomic_cmpswap_b64 v[6:7], v10, v[6:9], s[2:3] offset:32 glc
	s_waitcnt vmcnt(0)
	v_cmp_eq_u64_e32 vcc_lo, v[6:7], v[8:9]
	v_dual_mov_b32 v9, v7 :: v_dual_mov_b32 v8, v6
	s_or_b32 s15, vcc_lo, s15
	s_delay_alu instid0(SALU_CYCLE_1)
	s_and_not1_b32 exec_lo, exec_lo, s15
	s_cbranch_execnz .LBB1_205
.LBB1_206:                              ;   in Loop: Header=BB1_145 Depth=1
	s_or_b32 exec_lo, exec_lo, s14
	global_load_b64 v[6:7], v10, s[2:3] offset:16
	s_mov_b32 s15, exec_lo
	s_mov_b32 s14, exec_lo
	v_mbcnt_lo_u32_b32 v8, s15, 0
	s_delay_alu instid0(VALU_DEP_1)
	v_cmpx_eq_u32_e32 0, v8
	s_cbranch_execz .LBB1_208
; %bb.207:                              ;   in Loop: Header=BB1_145 Depth=1
	s_bcnt1_i32_b32 s15, s15
	s_delay_alu instid0(SALU_CYCLE_1)
	v_mov_b32_e32 v9, s15
	s_waitcnt vmcnt(0)
	global_atomic_add_u64 v[6:7], v[9:10], off offset:8
.LBB1_208:                              ;   in Loop: Header=BB1_145 Depth=1
	s_or_b32 exec_lo, exec_lo, s14
	s_waitcnt vmcnt(0)
	global_load_b64 v[13:14], v[6:7], off offset:16
	s_waitcnt vmcnt(0)
	v_cmp_eq_u64_e32 vcc_lo, 0, v[13:14]
	s_cbranch_vccnz .LBB1_210
; %bb.209:                              ;   in Loop: Header=BB1_145 Depth=1
	global_load_b32 v9, v[6:7], off offset:24
	s_waitcnt vmcnt(0)
	v_and_b32_e32 v6, 0xffffff, v9
	s_waitcnt_vscnt null, 0x0
	global_store_b64 v[13:14], v[9:10], off
	v_readfirstlane_b32 m0, v6
	s_sendmsg sendmsg(MSG_INTERRUPT)
.LBB1_210:                              ;   in Loop: Header=BB1_145 Depth=1
	s_or_b32 exec_lo, exec_lo, s1
	v_add_co_u32 v6, vcc_lo, v31, v34
	v_add_co_ci_u32_e32 v7, vcc_lo, 0, v32, vcc_lo
	s_branch .LBB1_214
	.p2align	6
.LBB1_211:                              ;   in Loop: Header=BB1_214 Depth=2
	s_or_b32 exec_lo, exec_lo, s1
	s_delay_alu instid0(VALU_DEP_1) | instskip(NEXT) | instid1(VALU_DEP_1)
	v_readfirstlane_b32 s1, v8
	s_cmp_eq_u32 s1, 0
	s_cbranch_scc1 .LBB1_213
; %bb.212:                              ;   in Loop: Header=BB1_214 Depth=2
	s_sleep 1
	s_cbranch_execnz .LBB1_214
	s_branch .LBB1_216
	.p2align	6
.LBB1_213:                              ;   in Loop: Header=BB1_145 Depth=1
	s_branch .LBB1_216
.LBB1_214:                              ;   Parent Loop BB1_145 Depth=1
                                        ; =>  This Inner Loop Header: Depth=2
	v_mov_b32_e32 v8, 1
	s_and_saveexec_b32 s1, s0
	s_cbranch_execz .LBB1_211
; %bb.215:                              ;   in Loop: Header=BB1_214 Depth=2
	global_load_b32 v8, v[2:3], off offset:20 glc
	s_waitcnt vmcnt(0)
	buffer_gl1_inv
	buffer_gl0_inv
	v_and_b32_e32 v8, 1, v8
	s_branch .LBB1_211
.LBB1_216:                              ;   in Loop: Header=BB1_145 Depth=1
	global_load_b128 v[6:9], v[6:7], off
	s_and_saveexec_b32 s1, s0
	s_cbranch_execz .LBB1_144
; %bb.217:                              ;   in Loop: Header=BB1_145 Depth=1
	s_clause 0x2
	global_load_b64 v[2:3], v10, s[2:3] offset:40
	global_load_b64 v[8:9], v10, s[2:3] offset:24 glc
	global_load_b64 v[15:16], v10, s[2:3]
	s_waitcnt vmcnt(2)
	v_add_co_u32 v17, vcc_lo, v2, 1
	v_add_co_ci_u32_e32 v18, vcc_lo, 0, v3, vcc_lo
	s_delay_alu instid0(VALU_DEP_2) | instskip(NEXT) | instid1(VALU_DEP_2)
	v_add_co_u32 v13, vcc_lo, v17, s12
	v_add_co_ci_u32_e32 v14, vcc_lo, s13, v18, vcc_lo
	s_delay_alu instid0(VALU_DEP_1) | instskip(SKIP_1) | instid1(VALU_DEP_1)
	v_cmp_eq_u64_e32 vcc_lo, 0, v[13:14]
	v_dual_cndmask_b32 v14, v14, v18 :: v_dual_cndmask_b32 v13, v13, v17
	v_and_b32_e32 v3, v14, v3
	s_delay_alu instid0(VALU_DEP_2) | instskip(NEXT) | instid1(VALU_DEP_2)
	v_and_b32_e32 v2, v13, v2
	v_mul_lo_u32 v3, v3, 24
	s_delay_alu instid0(VALU_DEP_2) | instskip(SKIP_1) | instid1(VALU_DEP_2)
	v_mul_hi_u32 v17, v2, 24
	v_mul_lo_u32 v2, v2, 24
	v_add_nc_u32_e32 v3, v17, v3
	s_waitcnt vmcnt(0)
	s_delay_alu instid0(VALU_DEP_2) | instskip(SKIP_1) | instid1(VALU_DEP_3)
	v_add_co_u32 v2, vcc_lo, v15, v2
	v_mov_b32_e32 v15, v8
	v_add_co_ci_u32_e32 v3, vcc_lo, v16, v3, vcc_lo
	v_mov_b32_e32 v16, v9
	global_store_b64 v[2:3], v[8:9], off
	s_waitcnt_vscnt null, 0x0
	global_atomic_cmpswap_b64 v[15:16], v10, v[13:16], s[2:3] offset:24 glc
	s_waitcnt vmcnt(0)
	v_cmp_ne_u64_e32 vcc_lo, v[15:16], v[8:9]
	s_and_b32 exec_lo, exec_lo, vcc_lo
	s_cbranch_execz .LBB1_144
; %bb.218:                              ;   in Loop: Header=BB1_145 Depth=1
	s_mov_b32 s0, 0
.LBB1_219:                              ;   Parent Loop BB1_145 Depth=1
                                        ; =>  This Inner Loop Header: Depth=2
	s_sleep 1
	global_store_b64 v[2:3], v[15:16], off
	s_waitcnt_vscnt null, 0x0
	global_atomic_cmpswap_b64 v[8:9], v10, v[13:16], s[2:3] offset:24 glc
	s_waitcnt vmcnt(0)
	v_cmp_eq_u64_e32 vcc_lo, v[8:9], v[15:16]
	v_dual_mov_b32 v16, v9 :: v_dual_mov_b32 v15, v8
	s_or_b32 s0, vcc_lo, s0
	s_delay_alu instid0(SALU_CYCLE_1)
	s_and_not1_b32 exec_lo, exec_lo, s0
	s_cbranch_execnz .LBB1_219
	s_branch .LBB1_144
.LBB1_220:
                                        ; implicit-def: $vgpr6_vgpr7
	s_cbranch_execnz .LBB1_222
	s_branch .LBB1_249
.LBB1_221:
	s_branch .LBB1_249
.LBB1_222:
	v_readfirstlane_b32 s0, v35
	v_mov_b32_e32 v10, 0
	v_mov_b32_e32 v11, 0
	s_delay_alu instid0(VALU_DEP_3) | instskip(NEXT) | instid1(VALU_DEP_1)
	v_cmp_eq_u32_e64 s0, s0, v35
	s_and_saveexec_b32 s1, s0
	s_cbranch_execz .LBB1_228
; %bb.223:
	s_waitcnt vmcnt(0)
	v_mov_b32_e32 v2, 0
	s_mov_b32 s4, exec_lo
	global_load_b64 v[8:9], v2, s[2:3] offset:24 glc
	s_waitcnt vmcnt(0)
	buffer_gl1_inv
	buffer_gl0_inv
	s_clause 0x1
	global_load_b64 v[6:7], v2, s[2:3] offset:40
	global_load_b64 v[10:11], v2, s[2:3]
	s_waitcnt vmcnt(1)
	v_and_b32_e32 v3, v7, v9
	v_and_b32_e32 v6, v6, v8
	s_delay_alu instid0(VALU_DEP_2) | instskip(NEXT) | instid1(VALU_DEP_2)
	v_mul_lo_u32 v3, v3, 24
	v_mul_hi_u32 v7, v6, 24
	v_mul_lo_u32 v6, v6, 24
	s_delay_alu instid0(VALU_DEP_2) | instskip(SKIP_1) | instid1(VALU_DEP_2)
	v_add_nc_u32_e32 v3, v7, v3
	s_waitcnt vmcnt(0)
	v_add_co_u32 v6, vcc_lo, v10, v6
	s_delay_alu instid0(VALU_DEP_2)
	v_add_co_ci_u32_e32 v7, vcc_lo, v11, v3, vcc_lo
	global_load_b64 v[6:7], v[6:7], off glc
	s_waitcnt vmcnt(0)
	global_atomic_cmpswap_b64 v[10:11], v2, v[6:9], s[2:3] offset:24 glc
	s_waitcnt vmcnt(0)
	buffer_gl1_inv
	buffer_gl0_inv
	v_cmpx_ne_u64_e64 v[10:11], v[8:9]
	s_cbranch_execz .LBB1_227
; %bb.224:
	s_mov_b32 s5, 0
	.p2align	6
.LBB1_225:                              ; =>This Inner Loop Header: Depth=1
	s_sleep 1
	s_clause 0x1
	global_load_b64 v[6:7], v2, s[2:3] offset:40
	global_load_b64 v[12:13], v2, s[2:3]
	v_dual_mov_b32 v8, v10 :: v_dual_mov_b32 v9, v11
	s_waitcnt vmcnt(1)
	s_delay_alu instid0(VALU_DEP_1) | instskip(SKIP_1) | instid1(VALU_DEP_1)
	v_and_b32_e32 v3, v6, v8
	s_waitcnt vmcnt(0)
	v_mad_u64_u32 v[10:11], null, v3, 24, v[12:13]
	v_and_b32_e32 v12, v7, v9
	s_delay_alu instid0(VALU_DEP_2) | instskip(NEXT) | instid1(VALU_DEP_1)
	v_mov_b32_e32 v3, v11
	v_mad_u64_u32 v[6:7], null, v12, 24, v[3:4]
	s_delay_alu instid0(VALU_DEP_1)
	v_mov_b32_e32 v11, v6
	global_load_b64 v[6:7], v[10:11], off glc
	s_waitcnt vmcnt(0)
	global_atomic_cmpswap_b64 v[10:11], v2, v[6:9], s[2:3] offset:24 glc
	s_waitcnt vmcnt(0)
	buffer_gl1_inv
	buffer_gl0_inv
	v_cmp_eq_u64_e32 vcc_lo, v[10:11], v[8:9]
	s_or_b32 s5, vcc_lo, s5
	s_delay_alu instid0(SALU_CYCLE_1)
	s_and_not1_b32 exec_lo, exec_lo, s5
	s_cbranch_execnz .LBB1_225
; %bb.226:
	s_or_b32 exec_lo, exec_lo, s5
.LBB1_227:
	s_delay_alu instid0(SALU_CYCLE_1)
	s_or_b32 exec_lo, exec_lo, s4
.LBB1_228:
	s_delay_alu instid0(SALU_CYCLE_1)
	s_or_b32 exec_lo, exec_lo, s1
	s_waitcnt vmcnt(0)
	v_mov_b32_e32 v2, 0
	v_readfirstlane_b32 s4, v10
	v_readfirstlane_b32 s5, v11
	s_mov_b32 s1, exec_lo
	s_clause 0x1
	global_load_b64 v[12:13], v2, s[2:3] offset:40
	global_load_b128 v[6:9], v2, s[2:3]
	s_waitcnt vmcnt(1)
	v_readfirstlane_b32 s6, v12
	v_readfirstlane_b32 s7, v13
	s_delay_alu instid0(VALU_DEP_1) | instskip(NEXT) | instid1(SALU_CYCLE_1)
	s_and_b64 s[6:7], s[4:5], s[6:7]
	s_mul_i32 s10, s7, 24
	s_mul_hi_u32 s11, s6, 24
	s_mul_i32 s12, s6, 24
	s_add_i32 s11, s11, s10
	s_waitcnt vmcnt(0)
	v_add_co_u32 v10, vcc_lo, v6, s12
	v_add_co_ci_u32_e32 v11, vcc_lo, s11, v7, vcc_lo
	s_and_saveexec_b32 s10, s0
	s_cbranch_execz .LBB1_230
; %bb.229:
	v_dual_mov_b32 v12, s1 :: v_dual_mov_b32 v13, v2
	v_dual_mov_b32 v14, 2 :: v_dual_mov_b32 v15, 1
	global_store_b128 v[10:11], v[12:15], off offset:8
.LBB1_230:
	s_or_b32 exec_lo, exec_lo, s10
	s_lshl_b64 s[6:7], s[6:7], 12
	s_mov_b32 s12, 0
	v_add_co_u32 v8, vcc_lo, v8, s6
	v_add_co_ci_u32_e32 v9, vcc_lo, s7, v9, vcc_lo
	s_mov_b32 s13, s12
	s_delay_alu instid0(VALU_DEP_2)
	v_readfirstlane_b32 s6, v8
	v_add_co_u32 v8, vcc_lo, v8, v34
	s_mov_b32 s14, s12
	s_mov_b32 s15, s12
	v_and_or_b32 v0, 0xffffff1f, v0, 32
	v_dual_mov_b32 v3, v2 :: v_dual_mov_b32 v12, s12
	v_readfirstlane_b32 s7, v9
	v_add_co_ci_u32_e32 v9, vcc_lo, 0, v9, vcc_lo
	v_dual_mov_b32 v13, s13 :: v_dual_mov_b32 v14, s14
	v_mov_b32_e32 v15, s15
	s_clause 0x3
	global_store_b128 v34, v[0:3], s[6:7]
	global_store_b128 v34, v[12:15], s[6:7] offset:16
	global_store_b128 v34, v[12:15], s[6:7] offset:32
	;; [unrolled: 1-line block ×3, first 2 shown]
	s_and_saveexec_b32 s1, s0
	s_cbranch_execz .LBB1_238
; %bb.231:
	v_dual_mov_b32 v12, 0 :: v_dual_mov_b32 v13, s4
	v_mov_b32_e32 v14, s5
	s_clause 0x1
	global_load_b64 v[15:16], v12, s[2:3] offset:32 glc
	global_load_b64 v[0:1], v12, s[2:3] offset:40
	s_waitcnt vmcnt(0)
	v_readfirstlane_b32 s6, v0
	v_readfirstlane_b32 s7, v1
	s_delay_alu instid0(VALU_DEP_1) | instskip(NEXT) | instid1(SALU_CYCLE_1)
	s_and_b64 s[6:7], s[6:7], s[4:5]
	s_mul_i32 s7, s7, 24
	s_mul_hi_u32 s10, s6, 24
	s_mul_i32 s6, s6, 24
	s_add_i32 s10, s10, s7
	v_add_co_u32 v6, vcc_lo, v6, s6
	v_add_co_ci_u32_e32 v7, vcc_lo, s10, v7, vcc_lo
	s_mov_b32 s6, exec_lo
	global_store_b64 v[6:7], v[15:16], off
	s_waitcnt_vscnt null, 0x0
	global_atomic_cmpswap_b64 v[2:3], v12, v[13:16], s[2:3] offset:32 glc
	s_waitcnt vmcnt(0)
	v_cmpx_ne_u64_e64 v[2:3], v[15:16]
	s_cbranch_execz .LBB1_234
; %bb.232:
	s_mov_b32 s7, 0
.LBB1_233:                              ; =>This Inner Loop Header: Depth=1
	v_dual_mov_b32 v0, s4 :: v_dual_mov_b32 v1, s5
	s_sleep 1
	global_store_b64 v[6:7], v[2:3], off
	s_waitcnt_vscnt null, 0x0
	global_atomic_cmpswap_b64 v[0:1], v12, v[0:3], s[2:3] offset:32 glc
	s_waitcnt vmcnt(0)
	v_cmp_eq_u64_e32 vcc_lo, v[0:1], v[2:3]
	v_dual_mov_b32 v3, v1 :: v_dual_mov_b32 v2, v0
	s_or_b32 s7, vcc_lo, s7
	s_delay_alu instid0(SALU_CYCLE_1)
	s_and_not1_b32 exec_lo, exec_lo, s7
	s_cbranch_execnz .LBB1_233
.LBB1_234:
	s_or_b32 exec_lo, exec_lo, s6
	v_mov_b32_e32 v3, 0
	s_mov_b32 s7, exec_lo
	s_mov_b32 s6, exec_lo
	v_mbcnt_lo_u32_b32 v2, s7, 0
	global_load_b64 v[0:1], v3, s[2:3] offset:16
	v_cmpx_eq_u32_e32 0, v2
	s_cbranch_execz .LBB1_236
; %bb.235:
	s_bcnt1_i32_b32 s7, s7
	s_delay_alu instid0(SALU_CYCLE_1)
	v_mov_b32_e32 v2, s7
	s_waitcnt vmcnt(0)
	global_atomic_add_u64 v[0:1], v[2:3], off offset:8
.LBB1_236:
	s_or_b32 exec_lo, exec_lo, s6
	s_waitcnt vmcnt(0)
	global_load_b64 v[2:3], v[0:1], off offset:16
	s_waitcnt vmcnt(0)
	v_cmp_eq_u64_e32 vcc_lo, 0, v[2:3]
	s_cbranch_vccnz .LBB1_238
; %bb.237:
	global_load_b32 v0, v[0:1], off offset:24
	s_waitcnt vmcnt(0)
	v_dual_mov_b32 v1, 0 :: v_dual_and_b32 v6, 0xffffff, v0
	s_waitcnt_vscnt null, 0x0
	global_store_b64 v[2:3], v[0:1], off
	v_readfirstlane_b32 m0, v6
	s_sendmsg sendmsg(MSG_INTERRUPT)
.LBB1_238:
	s_or_b32 exec_lo, exec_lo, s1
	s_branch .LBB1_242
	.p2align	6
.LBB1_239:                              ;   in Loop: Header=BB1_242 Depth=1
	s_or_b32 exec_lo, exec_lo, s1
	s_delay_alu instid0(VALU_DEP_1) | instskip(NEXT) | instid1(VALU_DEP_1)
	v_readfirstlane_b32 s1, v0
	s_cmp_eq_u32 s1, 0
	s_cbranch_scc1 .LBB1_241
; %bb.240:                              ;   in Loop: Header=BB1_242 Depth=1
	s_sleep 1
	s_cbranch_execnz .LBB1_242
	s_branch .LBB1_244
	.p2align	6
.LBB1_241:
	s_branch .LBB1_244
.LBB1_242:                              ; =>This Inner Loop Header: Depth=1
	v_mov_b32_e32 v0, 1
	s_and_saveexec_b32 s1, s0
	s_cbranch_execz .LBB1_239
; %bb.243:                              ;   in Loop: Header=BB1_242 Depth=1
	global_load_b32 v0, v[10:11], off offset:20 glc
	s_waitcnt vmcnt(0)
	buffer_gl1_inv
	buffer_gl0_inv
	v_and_b32_e32 v0, 1, v0
	s_branch .LBB1_239
.LBB1_244:
	global_load_b64 v[6:7], v[8:9], off
	s_and_saveexec_b32 s1, s0
	s_cbranch_execz .LBB1_248
; %bb.245:
	v_mov_b32_e32 v10, 0
	s_clause 0x2
	global_load_b64 v[2:3], v10, s[2:3] offset:40
	global_load_b64 v[11:12], v10, s[2:3] offset:24 glc
	global_load_b64 v[8:9], v10, s[2:3]
	s_waitcnt vmcnt(2)
	v_add_co_u32 v13, vcc_lo, v2, 1
	v_add_co_ci_u32_e32 v14, vcc_lo, 0, v3, vcc_lo
	s_delay_alu instid0(VALU_DEP_2) | instskip(NEXT) | instid1(VALU_DEP_2)
	v_add_co_u32 v0, vcc_lo, v13, s4
	v_add_co_ci_u32_e32 v1, vcc_lo, s5, v14, vcc_lo
	s_delay_alu instid0(VALU_DEP_1) | instskip(SKIP_1) | instid1(VALU_DEP_1)
	v_cmp_eq_u64_e32 vcc_lo, 0, v[0:1]
	v_dual_cndmask_b32 v1, v1, v14 :: v_dual_cndmask_b32 v0, v0, v13
	v_and_b32_e32 v3, v1, v3
	s_delay_alu instid0(VALU_DEP_2) | instskip(NEXT) | instid1(VALU_DEP_2)
	v_and_b32_e32 v2, v0, v2
	v_mul_lo_u32 v3, v3, 24
	s_delay_alu instid0(VALU_DEP_2) | instskip(SKIP_1) | instid1(VALU_DEP_2)
	v_mul_hi_u32 v13, v2, 24
	v_mul_lo_u32 v2, v2, 24
	v_add_nc_u32_e32 v3, v13, v3
	s_waitcnt vmcnt(0)
	s_delay_alu instid0(VALU_DEP_2) | instskip(SKIP_1) | instid1(VALU_DEP_3)
	v_add_co_u32 v8, vcc_lo, v8, v2
	v_mov_b32_e32 v2, v11
	v_add_co_ci_u32_e32 v9, vcc_lo, v9, v3, vcc_lo
	v_mov_b32_e32 v3, v12
	global_store_b64 v[8:9], v[11:12], off
	s_waitcnt_vscnt null, 0x0
	global_atomic_cmpswap_b64 v[2:3], v10, v[0:3], s[2:3] offset:24 glc
	s_waitcnt vmcnt(0)
	v_cmp_ne_u64_e32 vcc_lo, v[2:3], v[11:12]
	s_and_b32 exec_lo, exec_lo, vcc_lo
	s_cbranch_execz .LBB1_248
; %bb.246:
	s_mov_b32 s0, 0
.LBB1_247:                              ; =>This Inner Loop Header: Depth=1
	s_sleep 1
	global_store_b64 v[8:9], v[2:3], off
	s_waitcnt_vscnt null, 0x0
	global_atomic_cmpswap_b64 v[11:12], v10, v[0:3], s[2:3] offset:24 glc
	s_waitcnt vmcnt(0)
	v_cmp_eq_u64_e32 vcc_lo, v[11:12], v[2:3]
	v_dual_mov_b32 v2, v11 :: v_dual_mov_b32 v3, v12
	s_or_b32 s0, vcc_lo, s0
	s_delay_alu instid0(SALU_CYCLE_1)
	s_and_not1_b32 exec_lo, exec_lo, s0
	s_cbranch_execnz .LBB1_247
.LBB1_248:
	s_or_b32 exec_lo, exec_lo, s1
.LBB1_249:
	v_readfirstlane_b32 s0, v35
	v_mov_b32_e32 v10, 0
	v_mov_b32_e32 v11, 0
	s_delay_alu instid0(VALU_DEP_3) | instskip(NEXT) | instid1(VALU_DEP_1)
	v_cmp_eq_u32_e64 s0, s0, v35
	s_and_saveexec_b32 s1, s0
	s_cbranch_execz .LBB1_255
; %bb.250:
	s_waitcnt vmcnt(0)
	v_mov_b32_e32 v0, 0
	s_mov_b32 s4, exec_lo
	global_load_b64 v[12:13], v0, s[2:3] offset:24 glc
	s_waitcnt vmcnt(0)
	buffer_gl1_inv
	buffer_gl0_inv
	s_clause 0x1
	global_load_b64 v[1:2], v0, s[2:3] offset:40
	global_load_b64 v[8:9], v0, s[2:3]
	s_waitcnt vmcnt(1)
	v_and_b32_e32 v1, v1, v12
	v_and_b32_e32 v2, v2, v13
	s_delay_alu instid0(VALU_DEP_2) | instskip(NEXT) | instid1(VALU_DEP_2)
	v_mul_hi_u32 v3, v1, 24
	v_mul_lo_u32 v2, v2, 24
	v_mul_lo_u32 v1, v1, 24
	s_delay_alu instid0(VALU_DEP_2) | instskip(SKIP_1) | instid1(VALU_DEP_2)
	v_add_nc_u32_e32 v2, v3, v2
	s_waitcnt vmcnt(0)
	v_add_co_u32 v1, vcc_lo, v8, v1
	s_delay_alu instid0(VALU_DEP_2)
	v_add_co_ci_u32_e32 v2, vcc_lo, v9, v2, vcc_lo
	global_load_b64 v[10:11], v[1:2], off glc
	s_waitcnt vmcnt(0)
	global_atomic_cmpswap_b64 v[10:11], v0, v[10:13], s[2:3] offset:24 glc
	s_waitcnt vmcnt(0)
	buffer_gl1_inv
	buffer_gl0_inv
	v_cmpx_ne_u64_e64 v[10:11], v[12:13]
	s_cbranch_execz .LBB1_254
; %bb.251:
	s_mov_b32 s5, 0
	.p2align	6
.LBB1_252:                              ; =>This Inner Loop Header: Depth=1
	s_sleep 1
	s_clause 0x1
	global_load_b64 v[1:2], v0, s[2:3] offset:40
	global_load_b64 v[8:9], v0, s[2:3]
	v_dual_mov_b32 v13, v11 :: v_dual_mov_b32 v12, v10
	s_waitcnt vmcnt(1)
	s_delay_alu instid0(VALU_DEP_1) | instskip(SKIP_1) | instid1(VALU_DEP_1)
	v_and_b32_e32 v1, v1, v12
	s_waitcnt vmcnt(0)
	v_mad_u64_u32 v[10:11], null, v1, 24, v[8:9]
	s_delay_alu instid0(VALU_DEP_1) | instskip(NEXT) | instid1(VALU_DEP_1)
	v_dual_mov_b32 v1, v11 :: v_dual_and_b32 v8, v2, v13
	v_mad_u64_u32 v[2:3], null, v8, 24, v[1:2]
	s_delay_alu instid0(VALU_DEP_1)
	v_mov_b32_e32 v11, v2
	global_load_b64 v[10:11], v[10:11], off glc
	s_waitcnt vmcnt(0)
	global_atomic_cmpswap_b64 v[10:11], v0, v[10:13], s[2:3] offset:24 glc
	s_waitcnt vmcnt(0)
	buffer_gl1_inv
	buffer_gl0_inv
	v_cmp_eq_u64_e32 vcc_lo, v[10:11], v[12:13]
	s_or_b32 s5, vcc_lo, s5
	s_delay_alu instid0(SALU_CYCLE_1)
	s_and_not1_b32 exec_lo, exec_lo, s5
	s_cbranch_execnz .LBB1_252
; %bb.253:
	s_or_b32 exec_lo, exec_lo, s5
.LBB1_254:
	s_delay_alu instid0(SALU_CYCLE_1)
	s_or_b32 exec_lo, exec_lo, s4
.LBB1_255:
	s_delay_alu instid0(SALU_CYCLE_1)
	s_or_b32 exec_lo, exec_lo, s1
	s_waitcnt vmcnt(0)
	v_mov_b32_e32 v9, 0
	v_readfirstlane_b32 s4, v10
	v_readfirstlane_b32 s5, v11
	s_mov_b32 s1, exec_lo
	s_clause 0x1
	global_load_b64 v[12:13], v9, s[2:3] offset:40
	global_load_b128 v[0:3], v9, s[2:3]
	s_waitcnt vmcnt(1)
	v_readfirstlane_b32 s6, v12
	v_readfirstlane_b32 s7, v13
	s_delay_alu instid0(VALU_DEP_1) | instskip(NEXT) | instid1(SALU_CYCLE_1)
	s_and_b64 s[6:7], s[4:5], s[6:7]
	s_mul_i32 s10, s7, 24
	s_mul_hi_u32 s11, s6, 24
	s_mul_i32 s12, s6, 24
	s_add_i32 s11, s11, s10
	s_waitcnt vmcnt(0)
	v_add_co_u32 v10, vcc_lo, v0, s12
	v_add_co_ci_u32_e32 v11, vcc_lo, s11, v1, vcc_lo
	s_and_saveexec_b32 s10, s0
	s_cbranch_execz .LBB1_257
; %bb.256:
	v_dual_mov_b32 v8, s1 :: v_dual_mov_b32 v15, 1
	v_dual_mov_b32 v14, 2 :: v_dual_mov_b32 v13, v9
	s_delay_alu instid0(VALU_DEP_2)
	v_mov_b32_e32 v12, v8
	global_store_b128 v[10:11], v[12:15], off offset:8
.LBB1_257:
	s_or_b32 exec_lo, exec_lo, s10
	s_lshl_b64 s[6:7], s[6:7], 12
	s_mov_b32 s12, 0
	v_add_co_u32 v2, vcc_lo, v2, s6
	v_add_co_ci_u32_e32 v3, vcc_lo, s7, v3, vcc_lo
	s_mov_b32 s15, s12
	s_delay_alu instid0(VALU_DEP_2)
	v_add_co_u32 v12, vcc_lo, v2, v34
	s_mov_b32 s13, s12
	s_mov_b32 s14, s12
	v_and_or_b32 v6, 0xffffff1f, v6, 32
	v_dual_mov_b32 v8, 0x331 :: v_dual_mov_b32 v17, s15
	v_readfirstlane_b32 s6, v2
	v_readfirstlane_b32 s7, v3
	v_add_co_ci_u32_e32 v13, vcc_lo, 0, v3, vcc_lo
	v_dual_mov_b32 v16, s14 :: v_dual_mov_b32 v15, s13
	v_mov_b32_e32 v14, s12
	s_clause 0x3
	global_store_b128 v34, v[6:9], s[6:7]
	global_store_b128 v34, v[14:17], s[6:7] offset:16
	global_store_b128 v34, v[14:17], s[6:7] offset:32
	;; [unrolled: 1-line block ×3, first 2 shown]
	s_and_saveexec_b32 s1, s0
	s_cbranch_execz .LBB1_265
; %bb.258:
	v_dual_mov_b32 v8, 0 :: v_dual_mov_b32 v15, s5
	v_mov_b32_e32 v14, s4
	s_clause 0x1
	global_load_b64 v[16:17], v8, s[2:3] offset:32 glc
	global_load_b64 v[2:3], v8, s[2:3] offset:40
	s_waitcnt vmcnt(0)
	v_readfirstlane_b32 s6, v2
	v_readfirstlane_b32 s7, v3
	s_delay_alu instid0(VALU_DEP_1) | instskip(NEXT) | instid1(SALU_CYCLE_1)
	s_and_b64 s[6:7], s[6:7], s[4:5]
	s_mul_i32 s7, s7, 24
	s_mul_hi_u32 s10, s6, 24
	s_mul_i32 s6, s6, 24
	s_add_i32 s10, s10, s7
	v_add_co_u32 v6, vcc_lo, v0, s6
	v_add_co_ci_u32_e32 v7, vcc_lo, s10, v1, vcc_lo
	s_mov_b32 s6, exec_lo
	global_store_b64 v[6:7], v[16:17], off
	s_waitcnt_vscnt null, 0x0
	global_atomic_cmpswap_b64 v[2:3], v8, v[14:17], s[2:3] offset:32 glc
	s_waitcnt vmcnt(0)
	v_cmpx_ne_u64_e64 v[2:3], v[16:17]
	s_cbranch_execz .LBB1_261
; %bb.259:
	s_mov_b32 s7, 0
.LBB1_260:                              ; =>This Inner Loop Header: Depth=1
	v_dual_mov_b32 v0, s4 :: v_dual_mov_b32 v1, s5
	s_sleep 1
	global_store_b64 v[6:7], v[2:3], off
	s_waitcnt_vscnt null, 0x0
	global_atomic_cmpswap_b64 v[0:1], v8, v[0:3], s[2:3] offset:32 glc
	s_waitcnt vmcnt(0)
	v_cmp_eq_u64_e32 vcc_lo, v[0:1], v[2:3]
	v_dual_mov_b32 v3, v1 :: v_dual_mov_b32 v2, v0
	s_or_b32 s7, vcc_lo, s7
	s_delay_alu instid0(SALU_CYCLE_1)
	s_and_not1_b32 exec_lo, exec_lo, s7
	s_cbranch_execnz .LBB1_260
.LBB1_261:
	s_or_b32 exec_lo, exec_lo, s6
	v_mov_b32_e32 v3, 0
	s_mov_b32 s7, exec_lo
	s_mov_b32 s6, exec_lo
	v_mbcnt_lo_u32_b32 v2, s7, 0
	global_load_b64 v[0:1], v3, s[2:3] offset:16
	v_cmpx_eq_u32_e32 0, v2
	s_cbranch_execz .LBB1_263
; %bb.262:
	s_bcnt1_i32_b32 s7, s7
	s_delay_alu instid0(SALU_CYCLE_1)
	v_mov_b32_e32 v2, s7
	s_waitcnt vmcnt(0)
	global_atomic_add_u64 v[0:1], v[2:3], off offset:8
.LBB1_263:
	s_or_b32 exec_lo, exec_lo, s6
	s_waitcnt vmcnt(0)
	global_load_b64 v[2:3], v[0:1], off offset:16
	s_waitcnt vmcnt(0)
	v_cmp_eq_u64_e32 vcc_lo, 0, v[2:3]
	s_cbranch_vccnz .LBB1_265
; %bb.264:
	global_load_b32 v0, v[0:1], off offset:24
	s_waitcnt vmcnt(0)
	v_dual_mov_b32 v1, 0 :: v_dual_and_b32 v6, 0xffffff, v0
	s_waitcnt_vscnt null, 0x0
	global_store_b64 v[2:3], v[0:1], off
	v_readfirstlane_b32 m0, v6
	s_sendmsg sendmsg(MSG_INTERRUPT)
.LBB1_265:
	s_or_b32 exec_lo, exec_lo, s1
	s_branch .LBB1_269
	.p2align	6
.LBB1_266:                              ;   in Loop: Header=BB1_269 Depth=1
	s_or_b32 exec_lo, exec_lo, s1
	s_delay_alu instid0(VALU_DEP_1) | instskip(NEXT) | instid1(VALU_DEP_1)
	v_readfirstlane_b32 s1, v0
	s_cmp_eq_u32 s1, 0
	s_cbranch_scc1 .LBB1_268
; %bb.267:                              ;   in Loop: Header=BB1_269 Depth=1
	s_sleep 1
	s_cbranch_execnz .LBB1_269
	s_branch .LBB1_271
	.p2align	6
.LBB1_268:
	s_branch .LBB1_271
.LBB1_269:                              ; =>This Inner Loop Header: Depth=1
	v_mov_b32_e32 v0, 1
	s_and_saveexec_b32 s1, s0
	s_cbranch_execz .LBB1_266
; %bb.270:                              ;   in Loop: Header=BB1_269 Depth=1
	global_load_b32 v0, v[10:11], off offset:20 glc
	s_waitcnt vmcnt(0)
	buffer_gl1_inv
	buffer_gl0_inv
	v_and_b32_e32 v0, 1, v0
	s_branch .LBB1_266
.LBB1_271:
	global_load_b64 v[0:1], v[12:13], off
	s_and_saveexec_b32 s1, s0
	s_cbranch_execz .LBB1_275
; %bb.272:
	v_mov_b32_e32 v10, 0
	s_clause 0x2
	global_load_b64 v[2:3], v10, s[2:3] offset:40
	global_load_b64 v[11:12], v10, s[2:3] offset:24 glc
	global_load_b64 v[8:9], v10, s[2:3]
	s_waitcnt vmcnt(2)
	v_add_co_u32 v13, vcc_lo, v2, 1
	v_add_co_ci_u32_e32 v14, vcc_lo, 0, v3, vcc_lo
	s_delay_alu instid0(VALU_DEP_2) | instskip(NEXT) | instid1(VALU_DEP_2)
	v_add_co_u32 v6, vcc_lo, v13, s4
	v_add_co_ci_u32_e32 v7, vcc_lo, s5, v14, vcc_lo
	s_delay_alu instid0(VALU_DEP_1) | instskip(SKIP_1) | instid1(VALU_DEP_1)
	v_cmp_eq_u64_e32 vcc_lo, 0, v[6:7]
	v_dual_cndmask_b32 v7, v7, v14 :: v_dual_cndmask_b32 v6, v6, v13
	v_and_b32_e32 v3, v7, v3
	s_delay_alu instid0(VALU_DEP_2) | instskip(NEXT) | instid1(VALU_DEP_2)
	v_and_b32_e32 v2, v6, v2
	v_mul_lo_u32 v3, v3, 24
	s_delay_alu instid0(VALU_DEP_2) | instskip(SKIP_1) | instid1(VALU_DEP_2)
	v_mul_hi_u32 v13, v2, 24
	v_mul_lo_u32 v2, v2, 24
	v_add_nc_u32_e32 v3, v13, v3
	s_waitcnt vmcnt(0)
	s_delay_alu instid0(VALU_DEP_2) | instskip(SKIP_1) | instid1(VALU_DEP_3)
	v_add_co_u32 v2, vcc_lo, v8, v2
	v_mov_b32_e32 v8, v11
	v_add_co_ci_u32_e32 v3, vcc_lo, v9, v3, vcc_lo
	v_mov_b32_e32 v9, v12
	global_store_b64 v[2:3], v[11:12], off
	s_waitcnt_vscnt null, 0x0
	global_atomic_cmpswap_b64 v[8:9], v10, v[6:9], s[2:3] offset:24 glc
	s_waitcnt vmcnt(0)
	v_cmp_ne_u64_e32 vcc_lo, v[8:9], v[11:12]
	s_and_b32 exec_lo, exec_lo, vcc_lo
	s_cbranch_execz .LBB1_275
; %bb.273:
	s_mov_b32 s0, 0
.LBB1_274:                              ; =>This Inner Loop Header: Depth=1
	s_sleep 1
	global_store_b64 v[2:3], v[8:9], off
	s_waitcnt_vscnt null, 0x0
	global_atomic_cmpswap_b64 v[11:12], v10, v[6:9], s[2:3] offset:24 glc
	s_waitcnt vmcnt(0)
	v_cmp_eq_u64_e32 vcc_lo, v[11:12], v[8:9]
	v_dual_mov_b32 v8, v11 :: v_dual_mov_b32 v9, v12
	s_or_b32 s0, vcc_lo, s0
	s_delay_alu instid0(SALU_CYCLE_1)
	s_and_not1_b32 exec_lo, exec_lo, s0
	s_cbranch_execnz .LBB1_274
.LBB1_275:
	s_or_b32 exec_lo, exec_lo, s1
	v_dual_mov_b32 v7, v5 :: v_dual_mov_b32 v6, v4
	s_mov_b32 s0, 0
.LBB1_276:                              ; =>This Inner Loop Header: Depth=1
	flat_load_u8 v8, v[6:7]
	v_add_co_u32 v2, vcc_lo, v6, 1
	v_add_co_ci_u32_e32 v3, vcc_lo, 0, v7, vcc_lo
	s_delay_alu instid0(VALU_DEP_1) | instskip(SKIP_3) | instid1(SALU_CYCLE_1)
	v_dual_mov_b32 v7, v3 :: v_dual_mov_b32 v6, v2
	s_waitcnt vmcnt(0) lgkmcnt(0)
	v_cmp_eq_u16_e32 vcc_lo, 0, v8
	s_or_b32 s0, vcc_lo, s0
	s_and_not1_b32 exec_lo, exec_lo, s0
	s_cbranch_execnz .LBB1_276
; %bb.277:
	s_or_b32 exec_lo, exec_lo, s0
	s_delay_alu instid0(SALU_CYCLE_1)
	s_mov_b32 s0, exec_lo
	v_cmpx_ne_u64_e32 0, v[4:5]
	s_xor_b32 s10, exec_lo, s0
	s_cbranch_execz .LBB1_363
; %bb.278:
	v_sub_nc_u32_e32 v26, v2, v4
	v_dual_mov_b32 v7, 0 :: v_dual_and_b32 v32, 2, v0
	v_dual_mov_b32 v9, 1 :: v_dual_and_b32 v0, -3, v0
	v_mov_b32_e32 v8, 2
	s_delay_alu instid0(VALU_DEP_4)
	v_ashrrev_i32_e32 v27, 31, v26
	s_mov_b32 s12, 0
	s_mov_b32 s11, 0
	s_branch .LBB1_280
.LBB1_279:                              ;   in Loop: Header=BB1_280 Depth=1
	s_or_b32 exec_lo, exec_lo, s1
	v_sub_co_u32 v26, vcc_lo, v26, v28
	v_sub_co_ci_u32_e32 v27, vcc_lo, v27, v29, vcc_lo
	v_add_co_u32 v4, s0, v4, v28
	s_delay_alu instid0(VALU_DEP_1) | instskip(NEXT) | instid1(VALU_DEP_3)
	v_add_co_ci_u32_e64 v5, s0, v5, v29, s0
	v_cmp_eq_u64_e32 vcc_lo, 0, v[26:27]
	s_or_b32 s11, vcc_lo, s11
	s_delay_alu instid0(SALU_CYCLE_1)
	s_and_not1_b32 exec_lo, exec_lo, s11
	s_cbranch_execz .LBB1_362
.LBB1_280:                              ; =>This Loop Header: Depth=1
                                        ;     Child Loop BB1_283 Depth 2
                                        ;     Child Loop BB1_291 Depth 2
	;; [unrolled: 1-line block ×11, first 2 shown]
	s_delay_alu instid0(VALU_DEP_1)
	v_cmp_gt_u64_e32 vcc_lo, 56, v[26:27]
	s_mov_b32 s1, exec_lo
                                        ; implicit-def: $vgpr2_vgpr3
                                        ; implicit-def: $sgpr4
	v_dual_cndmask_b32 v29, 0, v27 :: v_dual_cndmask_b32 v28, 56, v26
	v_cmpx_gt_u64_e32 8, v[26:27]
	s_xor_b32 s1, exec_lo, s1
	s_cbranch_execz .LBB1_286
; %bb.281:                              ;   in Loop: Header=BB1_280 Depth=1
	s_waitcnt vmcnt(0)
	v_mov_b32_e32 v2, 0
	v_mov_b32_e32 v3, 0
	s_mov_b64 s[4:5], 0
	s_mov_b32 s6, exec_lo
	v_cmpx_ne_u64_e32 0, v[26:27]
	s_cbranch_execz .LBB1_285
; %bb.282:                              ;   in Loop: Header=BB1_280 Depth=1
	v_lshlrev_b64 v[10:11], 3, v[28:29]
	v_mov_b32_e32 v2, 0
	v_dual_mov_b32 v3, 0 :: v_dual_mov_b32 v12, v5
	v_mov_b32_e32 v11, v4
	s_mov_b32 s7, 0
	.p2align	6
.LBB1_283:                              ;   Parent Loop BB1_280 Depth=1
                                        ; =>  This Inner Loop Header: Depth=2
	flat_load_u8 v6, v[11:12]
	v_mov_b32_e32 v14, s12
	v_add_co_u32 v11, vcc_lo, v11, 1
	v_add_co_ci_u32_e32 v12, vcc_lo, 0, v12, vcc_lo
	s_waitcnt vmcnt(0) lgkmcnt(0)
	v_and_b32_e32 v13, 0xffff, v6
	s_delay_alu instid0(VALU_DEP_1) | instskip(SKIP_3) | instid1(VALU_DEP_2)
	v_lshlrev_b64 v[13:14], s4, v[13:14]
	s_add_u32 s4, s4, 8
	s_addc_u32 s5, s5, 0
	v_cmp_eq_u32_e64 s0, s4, v10
	v_or_b32_e32 v3, v14, v3
	s_delay_alu instid0(VALU_DEP_3) | instskip(NEXT) | instid1(VALU_DEP_3)
	v_or_b32_e32 v2, v13, v2
	s_or_b32 s7, s0, s7
	s_delay_alu instid0(SALU_CYCLE_1)
	s_and_not1_b32 exec_lo, exec_lo, s7
	s_cbranch_execnz .LBB1_283
; %bb.284:                              ;   in Loop: Header=BB1_280 Depth=1
	s_or_b32 exec_lo, exec_lo, s7
.LBB1_285:                              ;   in Loop: Header=BB1_280 Depth=1
	s_delay_alu instid0(SALU_CYCLE_1)
	s_or_b32 exec_lo, exec_lo, s6
	s_mov_b32 s4, 0
.LBB1_286:                              ;   in Loop: Header=BB1_280 Depth=1
	s_or_saveexec_b32 s0, s1
	v_dual_mov_b32 v6, s4 :: v_dual_mov_b32 v23, v5
	v_mov_b32_e32 v22, v4
	s_xor_b32 exec_lo, exec_lo, s0
	s_cbranch_execz .LBB1_288
; %bb.287:                              ;   in Loop: Header=BB1_280 Depth=1
	s_waitcnt vmcnt(0)
	flat_load_b64 v[2:3], v[4:5]
	v_add_co_u32 v22, vcc_lo, v4, 8
	v_add_co_ci_u32_e32 v23, vcc_lo, 0, v5, vcc_lo
	s_waitcnt vmcnt(0) lgkmcnt(0)
	v_and_b32_e32 v6, 0xff, v3
	v_and_b32_e32 v10, 0xff00, v3
	;; [unrolled: 1-line block ×4, first 2 shown]
	v_or3_b32 v2, v2, 0, 0
	s_delay_alu instid0(VALU_DEP_4) | instskip(SKIP_1) | instid1(VALU_DEP_2)
	v_or_b32_e32 v10, v6, v10
	v_add_nc_u32_e32 v6, -8, v28
	v_or3_b32 v3, v10, v11, v3
.LBB1_288:                              ;   in Loop: Header=BB1_280 Depth=1
	s_or_b32 exec_lo, exec_lo, s0
                                        ; implicit-def: $vgpr10_vgpr11
                                        ; implicit-def: $sgpr1
	s_delay_alu instid0(SALU_CYCLE_1) | instskip(NEXT) | instid1(VALU_DEP_2)
	s_mov_b32 s0, exec_lo
	v_cmpx_gt_u32_e32 8, v6
	s_xor_b32 s6, exec_lo, s0
	s_cbranch_execz .LBB1_294
; %bb.289:                              ;   in Loop: Header=BB1_280 Depth=1
	v_mov_b32_e32 v10, 0
	v_mov_b32_e32 v11, 0
	s_mov_b32 s7, exec_lo
	v_cmpx_ne_u32_e32 0, v6
	s_cbranch_execz .LBB1_293
; %bb.290:                              ;   in Loop: Header=BB1_280 Depth=1
	v_mov_b32_e32 v10, 0
	v_mov_b32_e32 v11, 0
	s_mov_b64 s[0:1], 0
	s_mov_b32 s13, 0
	s_mov_b64 s[4:5], 0
	.p2align	6
.LBB1_291:                              ;   Parent Loop BB1_280 Depth=1
                                        ; =>  This Inner Loop Header: Depth=2
	s_delay_alu instid0(SALU_CYCLE_1)
	v_add_co_u32 v12, vcc_lo, v22, s4
	v_add_co_ci_u32_e32 v13, vcc_lo, s5, v23, vcc_lo
	s_add_u32 s4, s4, 1
	s_addc_u32 s5, s5, 0
	v_cmp_eq_u32_e32 vcc_lo, s4, v6
	flat_load_u8 v12, v[12:13]
	s_waitcnt vmcnt(0) lgkmcnt(0)
	v_dual_mov_b32 v13, s12 :: v_dual_and_b32 v12, 0xffff, v12
	s_delay_alu instid0(VALU_DEP_1) | instskip(SKIP_3) | instid1(VALU_DEP_1)
	v_lshlrev_b64 v[12:13], s0, v[12:13]
	s_add_u32 s0, s0, 8
	s_addc_u32 s1, s1, 0
	s_or_b32 s13, vcc_lo, s13
	v_or_b32_e32 v11, v13, v11
	s_delay_alu instid0(VALU_DEP_2)
	v_or_b32_e32 v10, v12, v10
	s_and_not1_b32 exec_lo, exec_lo, s13
	s_cbranch_execnz .LBB1_291
; %bb.292:                              ;   in Loop: Header=BB1_280 Depth=1
	s_or_b32 exec_lo, exec_lo, s13
.LBB1_293:                              ;   in Loop: Header=BB1_280 Depth=1
	s_delay_alu instid0(SALU_CYCLE_1)
	s_or_b32 exec_lo, exec_lo, s7
	s_mov_b32 s1, 0
                                        ; implicit-def: $vgpr6
.LBB1_294:                              ;   in Loop: Header=BB1_280 Depth=1
	s_or_saveexec_b32 s0, s6
	v_mov_b32_e32 v14, s1
	s_xor_b32 exec_lo, exec_lo, s0
	s_cbranch_execz .LBB1_296
; %bb.295:                              ;   in Loop: Header=BB1_280 Depth=1
	flat_load_b64 v[10:11], v[22:23]
	v_add_co_u32 v22, vcc_lo, v22, 8
	v_add_nc_u32_e32 v14, -8, v6
	v_add_co_ci_u32_e32 v23, vcc_lo, 0, v23, vcc_lo
	s_waitcnt vmcnt(0) lgkmcnt(0)
	v_and_b32_e32 v12, 0xff, v11
	v_and_b32_e32 v13, 0xff00, v11
	;; [unrolled: 1-line block ×4, first 2 shown]
	v_or3_b32 v10, v10, 0, 0
	s_delay_alu instid0(VALU_DEP_4) | instskip(NEXT) | instid1(VALU_DEP_1)
	v_or_b32_e32 v12, v12, v13
	v_or3_b32 v11, v12, v15, v11
.LBB1_296:                              ;   in Loop: Header=BB1_280 Depth=1
	s_or_b32 exec_lo, exec_lo, s0
                                        ; implicit-def: $sgpr1
	s_delay_alu instid0(SALU_CYCLE_1)
	s_mov_b32 s0, exec_lo
	v_cmpx_gt_u32_e32 8, v14
	s_xor_b32 s6, exec_lo, s0
	s_cbranch_execz .LBB1_302
; %bb.297:                              ;   in Loop: Header=BB1_280 Depth=1
	v_mov_b32_e32 v12, 0
	v_mov_b32_e32 v13, 0
	s_mov_b32 s7, exec_lo
	v_cmpx_ne_u32_e32 0, v14
	s_cbranch_execz .LBB1_301
; %bb.298:                              ;   in Loop: Header=BB1_280 Depth=1
	v_mov_b32_e32 v12, 0
	v_mov_b32_e32 v13, 0
	s_mov_b64 s[0:1], 0
	s_mov_b32 s13, 0
	s_mov_b64 s[4:5], 0
	.p2align	6
.LBB1_299:                              ;   Parent Loop BB1_280 Depth=1
                                        ; =>  This Inner Loop Header: Depth=2
	s_delay_alu instid0(SALU_CYCLE_1)
	v_add_co_u32 v15, vcc_lo, v22, s4
	v_add_co_ci_u32_e32 v16, vcc_lo, s5, v23, vcc_lo
	s_add_u32 s4, s4, 1
	s_addc_u32 s5, s5, 0
	v_cmp_eq_u32_e32 vcc_lo, s4, v14
	flat_load_u8 v6, v[15:16]
	s_waitcnt vmcnt(0) lgkmcnt(0)
	v_dual_mov_b32 v16, s12 :: v_dual_and_b32 v15, 0xffff, v6
	s_delay_alu instid0(VALU_DEP_1) | instskip(SKIP_3) | instid1(VALU_DEP_1)
	v_lshlrev_b64 v[15:16], s0, v[15:16]
	s_add_u32 s0, s0, 8
	s_addc_u32 s1, s1, 0
	s_or_b32 s13, vcc_lo, s13
	v_or_b32_e32 v13, v16, v13
	s_delay_alu instid0(VALU_DEP_2)
	v_or_b32_e32 v12, v15, v12
	s_and_not1_b32 exec_lo, exec_lo, s13
	s_cbranch_execnz .LBB1_299
; %bb.300:                              ;   in Loop: Header=BB1_280 Depth=1
	s_or_b32 exec_lo, exec_lo, s13
.LBB1_301:                              ;   in Loop: Header=BB1_280 Depth=1
	s_delay_alu instid0(SALU_CYCLE_1)
	s_or_b32 exec_lo, exec_lo, s7
	s_mov_b32 s1, 0
                                        ; implicit-def: $vgpr14
.LBB1_302:                              ;   in Loop: Header=BB1_280 Depth=1
	s_or_saveexec_b32 s0, s6
	v_mov_b32_e32 v6, s1
	s_xor_b32 exec_lo, exec_lo, s0
	s_cbranch_execz .LBB1_304
; %bb.303:                              ;   in Loop: Header=BB1_280 Depth=1
	flat_load_b64 v[12:13], v[22:23]
	v_add_co_u32 v22, vcc_lo, v22, 8
	v_add_co_ci_u32_e32 v23, vcc_lo, 0, v23, vcc_lo
	s_waitcnt vmcnt(0) lgkmcnt(0)
	v_and_b32_e32 v6, 0xff, v13
	v_and_b32_e32 v15, 0xff00, v13
	;; [unrolled: 1-line block ×4, first 2 shown]
	v_or3_b32 v12, v12, 0, 0
	s_delay_alu instid0(VALU_DEP_4) | instskip(SKIP_1) | instid1(VALU_DEP_2)
	v_or_b32_e32 v15, v6, v15
	v_add_nc_u32_e32 v6, -8, v14
	v_or3_b32 v13, v15, v16, v13
.LBB1_304:                              ;   in Loop: Header=BB1_280 Depth=1
	s_or_b32 exec_lo, exec_lo, s0
                                        ; implicit-def: $vgpr14_vgpr15
                                        ; implicit-def: $sgpr1
	s_delay_alu instid0(SALU_CYCLE_1) | instskip(NEXT) | instid1(VALU_DEP_1)
	s_mov_b32 s0, exec_lo
	v_cmpx_gt_u32_e32 8, v6
	s_xor_b32 s6, exec_lo, s0
	s_cbranch_execz .LBB1_310
; %bb.305:                              ;   in Loop: Header=BB1_280 Depth=1
	v_mov_b32_e32 v14, 0
	v_mov_b32_e32 v15, 0
	s_mov_b32 s7, exec_lo
	v_cmpx_ne_u32_e32 0, v6
	s_cbranch_execz .LBB1_309
; %bb.306:                              ;   in Loop: Header=BB1_280 Depth=1
	v_mov_b32_e32 v14, 0
	v_mov_b32_e32 v15, 0
	s_mov_b64 s[0:1], 0
	s_mov_b32 s13, 0
	s_mov_b64 s[4:5], 0
	.p2align	6
.LBB1_307:                              ;   Parent Loop BB1_280 Depth=1
                                        ; =>  This Inner Loop Header: Depth=2
	s_delay_alu instid0(SALU_CYCLE_1)
	v_add_co_u32 v16, vcc_lo, v22, s4
	v_add_co_ci_u32_e32 v17, vcc_lo, s5, v23, vcc_lo
	s_add_u32 s4, s4, 1
	s_addc_u32 s5, s5, 0
	v_cmp_eq_u32_e32 vcc_lo, s4, v6
	flat_load_u8 v16, v[16:17]
	s_waitcnt vmcnt(0) lgkmcnt(0)
	v_dual_mov_b32 v17, s12 :: v_dual_and_b32 v16, 0xffff, v16
	s_delay_alu instid0(VALU_DEP_1) | instskip(SKIP_3) | instid1(VALU_DEP_1)
	v_lshlrev_b64 v[16:17], s0, v[16:17]
	s_add_u32 s0, s0, 8
	s_addc_u32 s1, s1, 0
	s_or_b32 s13, vcc_lo, s13
	v_or_b32_e32 v15, v17, v15
	s_delay_alu instid0(VALU_DEP_2)
	v_or_b32_e32 v14, v16, v14
	s_and_not1_b32 exec_lo, exec_lo, s13
	s_cbranch_execnz .LBB1_307
; %bb.308:                              ;   in Loop: Header=BB1_280 Depth=1
	s_or_b32 exec_lo, exec_lo, s13
.LBB1_309:                              ;   in Loop: Header=BB1_280 Depth=1
	s_delay_alu instid0(SALU_CYCLE_1)
	s_or_b32 exec_lo, exec_lo, s7
	s_mov_b32 s1, 0
                                        ; implicit-def: $vgpr6
.LBB1_310:                              ;   in Loop: Header=BB1_280 Depth=1
	s_or_saveexec_b32 s0, s6
	v_mov_b32_e32 v18, s1
	s_xor_b32 exec_lo, exec_lo, s0
	s_cbranch_execz .LBB1_312
; %bb.311:                              ;   in Loop: Header=BB1_280 Depth=1
	flat_load_b64 v[14:15], v[22:23]
	v_add_co_u32 v22, vcc_lo, v22, 8
	v_add_nc_u32_e32 v18, -8, v6
	v_add_co_ci_u32_e32 v23, vcc_lo, 0, v23, vcc_lo
	s_waitcnt vmcnt(0) lgkmcnt(0)
	v_and_b32_e32 v16, 0xff, v15
	v_and_b32_e32 v17, 0xff00, v15
	;; [unrolled: 1-line block ×4, first 2 shown]
	v_or3_b32 v14, v14, 0, 0
	s_delay_alu instid0(VALU_DEP_4) | instskip(NEXT) | instid1(VALU_DEP_1)
	v_or_b32_e32 v16, v16, v17
	v_or3_b32 v15, v16, v19, v15
.LBB1_312:                              ;   in Loop: Header=BB1_280 Depth=1
	s_or_b32 exec_lo, exec_lo, s0
                                        ; implicit-def: $sgpr1
	s_delay_alu instid0(SALU_CYCLE_1)
	s_mov_b32 s0, exec_lo
	v_cmpx_gt_u32_e32 8, v18
	s_xor_b32 s6, exec_lo, s0
	s_cbranch_execz .LBB1_318
; %bb.313:                              ;   in Loop: Header=BB1_280 Depth=1
	v_mov_b32_e32 v16, 0
	v_mov_b32_e32 v17, 0
	s_mov_b32 s7, exec_lo
	v_cmpx_ne_u32_e32 0, v18
	s_cbranch_execz .LBB1_317
; %bb.314:                              ;   in Loop: Header=BB1_280 Depth=1
	v_mov_b32_e32 v16, 0
	v_mov_b32_e32 v17, 0
	s_mov_b64 s[0:1], 0
	s_mov_b32 s13, 0
	s_mov_b64 s[4:5], 0
	.p2align	6
.LBB1_315:                              ;   Parent Loop BB1_280 Depth=1
                                        ; =>  This Inner Loop Header: Depth=2
	s_delay_alu instid0(SALU_CYCLE_1)
	v_add_co_u32 v19, vcc_lo, v22, s4
	v_add_co_ci_u32_e32 v20, vcc_lo, s5, v23, vcc_lo
	s_add_u32 s4, s4, 1
	s_addc_u32 s5, s5, 0
	v_cmp_eq_u32_e32 vcc_lo, s4, v18
	flat_load_u8 v6, v[19:20]
	s_waitcnt vmcnt(0) lgkmcnt(0)
	v_dual_mov_b32 v20, s12 :: v_dual_and_b32 v19, 0xffff, v6
	s_delay_alu instid0(VALU_DEP_1) | instskip(SKIP_3) | instid1(VALU_DEP_1)
	v_lshlrev_b64 v[19:20], s0, v[19:20]
	s_add_u32 s0, s0, 8
	s_addc_u32 s1, s1, 0
	s_or_b32 s13, vcc_lo, s13
	v_or_b32_e32 v17, v20, v17
	s_delay_alu instid0(VALU_DEP_2)
	v_or_b32_e32 v16, v19, v16
	s_and_not1_b32 exec_lo, exec_lo, s13
	s_cbranch_execnz .LBB1_315
; %bb.316:                              ;   in Loop: Header=BB1_280 Depth=1
	s_or_b32 exec_lo, exec_lo, s13
.LBB1_317:                              ;   in Loop: Header=BB1_280 Depth=1
	s_delay_alu instid0(SALU_CYCLE_1)
	s_or_b32 exec_lo, exec_lo, s7
	s_mov_b32 s1, 0
                                        ; implicit-def: $vgpr18
.LBB1_318:                              ;   in Loop: Header=BB1_280 Depth=1
	s_or_saveexec_b32 s0, s6
	v_mov_b32_e32 v6, s1
	s_xor_b32 exec_lo, exec_lo, s0
	s_cbranch_execz .LBB1_320
; %bb.319:                              ;   in Loop: Header=BB1_280 Depth=1
	flat_load_b64 v[16:17], v[22:23]
	v_add_co_u32 v22, vcc_lo, v22, 8
	v_add_co_ci_u32_e32 v23, vcc_lo, 0, v23, vcc_lo
	s_waitcnt vmcnt(0) lgkmcnt(0)
	v_and_b32_e32 v6, 0xff, v17
	v_and_b32_e32 v19, 0xff00, v17
	v_and_b32_e32 v20, 0xff0000, v17
	v_and_b32_e32 v17, 0xff000000, v17
	v_or3_b32 v16, v16, 0, 0
	s_delay_alu instid0(VALU_DEP_4) | instskip(SKIP_1) | instid1(VALU_DEP_2)
	v_or_b32_e32 v19, v6, v19
	v_add_nc_u32_e32 v6, -8, v18
	v_or3_b32 v17, v19, v20, v17
.LBB1_320:                              ;   in Loop: Header=BB1_280 Depth=1
	s_or_b32 exec_lo, exec_lo, s0
                                        ; implicit-def: $vgpr18_vgpr19
                                        ; implicit-def: $sgpr1
	s_delay_alu instid0(SALU_CYCLE_1) | instskip(NEXT) | instid1(VALU_DEP_1)
	s_mov_b32 s0, exec_lo
	v_cmpx_gt_u32_e32 8, v6
	s_xor_b32 s6, exec_lo, s0
	s_cbranch_execz .LBB1_326
; %bb.321:                              ;   in Loop: Header=BB1_280 Depth=1
	v_mov_b32_e32 v18, 0
	v_mov_b32_e32 v19, 0
	s_mov_b32 s7, exec_lo
	v_cmpx_ne_u32_e32 0, v6
	s_cbranch_execz .LBB1_325
; %bb.322:                              ;   in Loop: Header=BB1_280 Depth=1
	v_mov_b32_e32 v18, 0
	v_mov_b32_e32 v19, 0
	s_mov_b64 s[0:1], 0
	s_mov_b32 s13, 0
	s_mov_b64 s[4:5], 0
	.p2align	6
.LBB1_323:                              ;   Parent Loop BB1_280 Depth=1
                                        ; =>  This Inner Loop Header: Depth=2
	s_delay_alu instid0(SALU_CYCLE_1)
	v_add_co_u32 v20, vcc_lo, v22, s4
	v_add_co_ci_u32_e32 v21, vcc_lo, s5, v23, vcc_lo
	s_add_u32 s4, s4, 1
	s_addc_u32 s5, s5, 0
	v_cmp_eq_u32_e32 vcc_lo, s4, v6
	flat_load_u8 v20, v[20:21]
	s_waitcnt vmcnt(0) lgkmcnt(0)
	v_dual_mov_b32 v21, s12 :: v_dual_and_b32 v20, 0xffff, v20
	s_delay_alu instid0(VALU_DEP_1) | instskip(SKIP_3) | instid1(VALU_DEP_1)
	v_lshlrev_b64 v[20:21], s0, v[20:21]
	s_add_u32 s0, s0, 8
	s_addc_u32 s1, s1, 0
	s_or_b32 s13, vcc_lo, s13
	v_or_b32_e32 v19, v21, v19
	s_delay_alu instid0(VALU_DEP_2)
	v_or_b32_e32 v18, v20, v18
	s_and_not1_b32 exec_lo, exec_lo, s13
	s_cbranch_execnz .LBB1_323
; %bb.324:                              ;   in Loop: Header=BB1_280 Depth=1
	s_or_b32 exec_lo, exec_lo, s13
.LBB1_325:                              ;   in Loop: Header=BB1_280 Depth=1
	s_delay_alu instid0(SALU_CYCLE_1)
	s_or_b32 exec_lo, exec_lo, s7
	s_mov_b32 s1, 0
                                        ; implicit-def: $vgpr6
.LBB1_326:                              ;   in Loop: Header=BB1_280 Depth=1
	s_or_saveexec_b32 s0, s6
	v_mov_b32_e32 v24, s1
	s_xor_b32 exec_lo, exec_lo, s0
	s_cbranch_execz .LBB1_328
; %bb.327:                              ;   in Loop: Header=BB1_280 Depth=1
	flat_load_b64 v[18:19], v[22:23]
	v_add_co_u32 v22, vcc_lo, v22, 8
	v_add_nc_u32_e32 v24, -8, v6
	v_add_co_ci_u32_e32 v23, vcc_lo, 0, v23, vcc_lo
	s_waitcnt vmcnt(0) lgkmcnt(0)
	v_and_b32_e32 v20, 0xff, v19
	v_and_b32_e32 v21, 0xff00, v19
	;; [unrolled: 1-line block ×4, first 2 shown]
	v_or3_b32 v18, v18, 0, 0
	s_delay_alu instid0(VALU_DEP_4) | instskip(NEXT) | instid1(VALU_DEP_1)
	v_or_b32_e32 v20, v20, v21
	v_or3_b32 v19, v20, v25, v19
.LBB1_328:                              ;   in Loop: Header=BB1_280 Depth=1
	s_or_b32 exec_lo, exec_lo, s0
	s_delay_alu instid0(SALU_CYCLE_1)
	s_mov_b32 s0, exec_lo
	v_cmpx_gt_u32_e32 8, v24
	s_xor_b32 s4, exec_lo, s0
	s_cbranch_execz .LBB1_334
; %bb.329:                              ;   in Loop: Header=BB1_280 Depth=1
	v_mov_b32_e32 v20, 0
	v_mov_b32_e32 v21, 0
	s_mov_b32 s5, exec_lo
	v_cmpx_ne_u32_e32 0, v24
	s_cbranch_execz .LBB1_333
; %bb.330:                              ;   in Loop: Header=BB1_280 Depth=1
	v_mov_b32_e32 v20, 0
	v_mov_b32_e32 v21, 0
	s_mov_b64 s[0:1], 0
	s_mov_b32 s6, 0
	.p2align	6
.LBB1_331:                              ;   Parent Loop BB1_280 Depth=1
                                        ; =>  This Inner Loop Header: Depth=2
	flat_load_u8 v6, v[22:23]
	v_dual_mov_b32 v31, s12 :: v_dual_add_nc_u32 v24, -1, v24
	v_add_co_u32 v22, vcc_lo, v22, 1
	v_add_co_ci_u32_e32 v23, vcc_lo, 0, v23, vcc_lo
	s_delay_alu instid0(VALU_DEP_3) | instskip(SKIP_2) | instid1(VALU_DEP_1)
	v_cmp_eq_u32_e32 vcc_lo, 0, v24
	s_waitcnt vmcnt(0) lgkmcnt(0)
	v_and_b32_e32 v30, 0xffff, v6
	v_lshlrev_b64 v[30:31], s0, v[30:31]
	s_add_u32 s0, s0, 8
	s_addc_u32 s1, s1, 0
	s_or_b32 s6, vcc_lo, s6
	s_delay_alu instid0(VALU_DEP_1) | instskip(NEXT) | instid1(VALU_DEP_2)
	v_or_b32_e32 v21, v31, v21
	v_or_b32_e32 v20, v30, v20
	s_and_not1_b32 exec_lo, exec_lo, s6
	s_cbranch_execnz .LBB1_331
; %bb.332:                              ;   in Loop: Header=BB1_280 Depth=1
	s_or_b32 exec_lo, exec_lo, s6
.LBB1_333:                              ;   in Loop: Header=BB1_280 Depth=1
	s_delay_alu instid0(SALU_CYCLE_1)
	s_or_b32 exec_lo, exec_lo, s5
                                        ; implicit-def: $vgpr22_vgpr23
.LBB1_334:                              ;   in Loop: Header=BB1_280 Depth=1
	s_and_not1_saveexec_b32 s0, s4
	s_cbranch_execz .LBB1_336
; %bb.335:                              ;   in Loop: Header=BB1_280 Depth=1
	flat_load_b64 v[20:21], v[22:23]
	s_waitcnt vmcnt(0) lgkmcnt(0)
	v_and_b32_e32 v6, 0xff, v21
	v_and_b32_e32 v22, 0xff00, v21
	;; [unrolled: 1-line block ×4, first 2 shown]
	v_or3_b32 v20, v20, 0, 0
	s_delay_alu instid0(VALU_DEP_4) | instskip(NEXT) | instid1(VALU_DEP_1)
	v_or_b32_e32 v6, v6, v22
	v_or3_b32 v21, v6, v23, v21
.LBB1_336:                              ;   in Loop: Header=BB1_280 Depth=1
	s_or_b32 exec_lo, exec_lo, s0
	v_readfirstlane_b32 s0, v35
	v_mov_b32_e32 v30, 0
	v_mov_b32_e32 v31, 0
	s_delay_alu instid0(VALU_DEP_3) | instskip(NEXT) | instid1(VALU_DEP_1)
	v_cmp_eq_u32_e64 s0, s0, v35
	s_and_saveexec_b32 s1, s0
	s_cbranch_execz .LBB1_342
; %bb.337:                              ;   in Loop: Header=BB1_280 Depth=1
	global_load_b64 v[24:25], v7, s[2:3] offset:24 glc
	s_waitcnt vmcnt(0)
	buffer_gl1_inv
	buffer_gl0_inv
	s_clause 0x1
	global_load_b64 v[22:23], v7, s[2:3] offset:40
	global_load_b64 v[30:31], v7, s[2:3]
	s_mov_b32 s4, exec_lo
	s_waitcnt vmcnt(1)
	v_and_b32_e32 v6, v23, v25
	v_and_b32_e32 v22, v22, v24
	s_delay_alu instid0(VALU_DEP_2) | instskip(NEXT) | instid1(VALU_DEP_2)
	v_mul_lo_u32 v6, v6, 24
	v_mul_hi_u32 v23, v22, 24
	v_mul_lo_u32 v22, v22, 24
	s_delay_alu instid0(VALU_DEP_2) | instskip(SKIP_1) | instid1(VALU_DEP_2)
	v_add_nc_u32_e32 v6, v23, v6
	s_waitcnt vmcnt(0)
	v_add_co_u32 v22, vcc_lo, v30, v22
	s_delay_alu instid0(VALU_DEP_2)
	v_add_co_ci_u32_e32 v23, vcc_lo, v31, v6, vcc_lo
	global_load_b64 v[22:23], v[22:23], off glc
	s_waitcnt vmcnt(0)
	global_atomic_cmpswap_b64 v[30:31], v7, v[22:25], s[2:3] offset:24 glc
	s_waitcnt vmcnt(0)
	buffer_gl1_inv
	buffer_gl0_inv
	v_cmpx_ne_u64_e64 v[30:31], v[24:25]
	s_cbranch_execz .LBB1_341
; %bb.338:                              ;   in Loop: Header=BB1_280 Depth=1
	s_mov_b32 s5, 0
	.p2align	6
.LBB1_339:                              ;   Parent Loop BB1_280 Depth=1
                                        ; =>  This Inner Loop Header: Depth=2
	s_sleep 1
	s_clause 0x1
	global_load_b64 v[22:23], v7, s[2:3] offset:40
	global_load_b64 v[36:37], v7, s[2:3]
	v_dual_mov_b32 v24, v30 :: v_dual_mov_b32 v25, v31
	s_waitcnt vmcnt(1)
	s_delay_alu instid0(VALU_DEP_1) | instskip(NEXT) | instid1(VALU_DEP_2)
	v_and_b32_e32 v6, v22, v24
	v_and_b32_e32 v33, v23, v25
	s_waitcnt vmcnt(0)
	s_delay_alu instid0(VALU_DEP_2) | instskip(NEXT) | instid1(VALU_DEP_1)
	v_mad_u64_u32 v[30:31], null, v6, 24, v[36:37]
	v_mov_b32_e32 v6, v31
	s_delay_alu instid0(VALU_DEP_1) | instskip(NEXT) | instid1(VALU_DEP_1)
	v_mad_u64_u32 v[22:23], null, v33, 24, v[6:7]
	v_mov_b32_e32 v31, v22
	global_load_b64 v[22:23], v[30:31], off glc
	s_waitcnt vmcnt(0)
	global_atomic_cmpswap_b64 v[30:31], v7, v[22:25], s[2:3] offset:24 glc
	s_waitcnt vmcnt(0)
	buffer_gl1_inv
	buffer_gl0_inv
	v_cmp_eq_u64_e32 vcc_lo, v[30:31], v[24:25]
	s_or_b32 s5, vcc_lo, s5
	s_delay_alu instid0(SALU_CYCLE_1)
	s_and_not1_b32 exec_lo, exec_lo, s5
	s_cbranch_execnz .LBB1_339
; %bb.340:                              ;   in Loop: Header=BB1_280 Depth=1
	s_or_b32 exec_lo, exec_lo, s5
.LBB1_341:                              ;   in Loop: Header=BB1_280 Depth=1
	s_delay_alu instid0(SALU_CYCLE_1)
	s_or_b32 exec_lo, exec_lo, s4
.LBB1_342:                              ;   in Loop: Header=BB1_280 Depth=1
	s_delay_alu instid0(SALU_CYCLE_1)
	s_or_b32 exec_lo, exec_lo, s1
	s_clause 0x1
	global_load_b64 v[36:37], v7, s[2:3] offset:40
	global_load_b128 v[22:25], v7, s[2:3]
	v_readfirstlane_b32 s4, v30
	v_readfirstlane_b32 s5, v31
	s_mov_b32 s1, exec_lo
	s_waitcnt vmcnt(1)
	v_readfirstlane_b32 s6, v36
	v_readfirstlane_b32 s7, v37
	s_delay_alu instid0(VALU_DEP_1) | instskip(NEXT) | instid1(SALU_CYCLE_1)
	s_and_b64 s[6:7], s[4:5], s[6:7]
	s_mul_i32 s13, s7, 24
	s_mul_hi_u32 s14, s6, 24
	s_mul_i32 s15, s6, 24
	s_add_i32 s14, s14, s13
	s_waitcnt vmcnt(0)
	v_add_co_u32 v30, vcc_lo, v22, s15
	v_add_co_ci_u32_e32 v31, vcc_lo, s14, v23, vcc_lo
	s_and_saveexec_b32 s13, s0
	s_cbranch_execz .LBB1_344
; %bb.343:                              ;   in Loop: Header=BB1_280 Depth=1
	v_mov_b32_e32 v6, s1
	global_store_b128 v[30:31], v[6:9], off offset:8
.LBB1_344:                              ;   in Loop: Header=BB1_280 Depth=1
	s_or_b32 exec_lo, exec_lo, s13
	v_cmp_lt_u64_e32 vcc_lo, 56, v[26:27]
	v_or_b32_e32 v6, 0, v1
	v_or_b32_e32 v33, v0, v32
	v_lshl_add_u32 v36, v28, 2, 28
	s_lshl_b64 s[6:7], s[6:7], 12
	s_delay_alu instid0(SALU_CYCLE_1) | instskip(NEXT) | instid1(VALU_DEP_1)
	v_add_co_u32 v24, s1, v24, s6
	v_add_co_ci_u32_e64 v25, s1, s7, v25, s1
	v_dual_cndmask_b32 v1, v6, v1 :: v_dual_cndmask_b32 v0, v33, v0
	v_and_b32_e32 v6, 0x1e0, v36
	s_delay_alu instid0(VALU_DEP_4) | instskip(NEXT) | instid1(VALU_DEP_4)
	v_readfirstlane_b32 s6, v24
	v_readfirstlane_b32 s7, v25
	s_delay_alu instid0(VALU_DEP_3)
	v_and_or_b32 v0, 0xffffff1f, v0, v6
	s_clause 0x3
	global_store_b128 v34, v[0:3], s[6:7]
	global_store_b128 v34, v[10:13], s[6:7] offset:16
	global_store_b128 v34, v[14:17], s[6:7] offset:32
	;; [unrolled: 1-line block ×3, first 2 shown]
	s_and_saveexec_b32 s1, s0
	s_cbranch_execz .LBB1_352
; %bb.345:                              ;   in Loop: Header=BB1_280 Depth=1
	s_clause 0x1
	global_load_b64 v[14:15], v7, s[2:3] offset:32 glc
	global_load_b64 v[0:1], v7, s[2:3] offset:40
	v_dual_mov_b32 v12, s4 :: v_dual_mov_b32 v13, s5
	s_waitcnt vmcnt(0)
	v_readfirstlane_b32 s6, v0
	v_readfirstlane_b32 s7, v1
	s_delay_alu instid0(VALU_DEP_1) | instskip(NEXT) | instid1(SALU_CYCLE_1)
	s_and_b64 s[6:7], s[6:7], s[4:5]
	s_mul_i32 s7, s7, 24
	s_mul_hi_u32 s13, s6, 24
	s_mul_i32 s6, s6, 24
	s_add_i32 s13, s13, s7
	v_add_co_u32 v10, vcc_lo, v22, s6
	v_add_co_ci_u32_e32 v11, vcc_lo, s13, v23, vcc_lo
	s_mov_b32 s6, exec_lo
	global_store_b64 v[10:11], v[14:15], off
	s_waitcnt_vscnt null, 0x0
	global_atomic_cmpswap_b64 v[2:3], v7, v[12:15], s[2:3] offset:32 glc
	s_waitcnt vmcnt(0)
	v_cmpx_ne_u64_e64 v[2:3], v[14:15]
	s_cbranch_execz .LBB1_348
; %bb.346:                              ;   in Loop: Header=BB1_280 Depth=1
	s_mov_b32 s7, 0
.LBB1_347:                              ;   Parent Loop BB1_280 Depth=1
                                        ; =>  This Inner Loop Header: Depth=2
	v_dual_mov_b32 v0, s4 :: v_dual_mov_b32 v1, s5
	s_sleep 1
	global_store_b64 v[10:11], v[2:3], off
	s_waitcnt_vscnt null, 0x0
	global_atomic_cmpswap_b64 v[0:1], v7, v[0:3], s[2:3] offset:32 glc
	s_waitcnt vmcnt(0)
	v_cmp_eq_u64_e32 vcc_lo, v[0:1], v[2:3]
	v_dual_mov_b32 v3, v1 :: v_dual_mov_b32 v2, v0
	s_or_b32 s7, vcc_lo, s7
	s_delay_alu instid0(SALU_CYCLE_1)
	s_and_not1_b32 exec_lo, exec_lo, s7
	s_cbranch_execnz .LBB1_347
.LBB1_348:                              ;   in Loop: Header=BB1_280 Depth=1
	s_or_b32 exec_lo, exec_lo, s6
	global_load_b64 v[0:1], v7, s[2:3] offset:16
	s_mov_b32 s7, exec_lo
	s_mov_b32 s6, exec_lo
	v_mbcnt_lo_u32_b32 v2, s7, 0
	s_delay_alu instid0(VALU_DEP_1)
	v_cmpx_eq_u32_e32 0, v2
	s_cbranch_execz .LBB1_350
; %bb.349:                              ;   in Loop: Header=BB1_280 Depth=1
	s_bcnt1_i32_b32 s7, s7
	s_delay_alu instid0(SALU_CYCLE_1)
	v_mov_b32_e32 v6, s7
	s_waitcnt vmcnt(0)
	global_atomic_add_u64 v[0:1], v[6:7], off offset:8
.LBB1_350:                              ;   in Loop: Header=BB1_280 Depth=1
	s_or_b32 exec_lo, exec_lo, s6
	s_waitcnt vmcnt(0)
	global_load_b64 v[2:3], v[0:1], off offset:16
	s_waitcnt vmcnt(0)
	v_cmp_eq_u64_e32 vcc_lo, 0, v[2:3]
	s_cbranch_vccnz .LBB1_352
; %bb.351:                              ;   in Loop: Header=BB1_280 Depth=1
	global_load_b32 v6, v[0:1], off offset:24
	s_waitcnt vmcnt(0)
	v_and_b32_e32 v0, 0xffffff, v6
	s_waitcnt_vscnt null, 0x0
	global_store_b64 v[2:3], v[6:7], off
	v_readfirstlane_b32 m0, v0
	s_sendmsg sendmsg(MSG_INTERRUPT)
.LBB1_352:                              ;   in Loop: Header=BB1_280 Depth=1
	s_or_b32 exec_lo, exec_lo, s1
	v_add_co_u32 v0, vcc_lo, v24, v34
	v_add_co_ci_u32_e32 v1, vcc_lo, 0, v25, vcc_lo
	s_branch .LBB1_356
	.p2align	6
.LBB1_353:                              ;   in Loop: Header=BB1_356 Depth=2
	s_or_b32 exec_lo, exec_lo, s1
	s_delay_alu instid0(VALU_DEP_1) | instskip(NEXT) | instid1(VALU_DEP_1)
	v_readfirstlane_b32 s1, v2
	s_cmp_eq_u32 s1, 0
	s_cbranch_scc1 .LBB1_355
; %bb.354:                              ;   in Loop: Header=BB1_356 Depth=2
	s_sleep 1
	s_cbranch_execnz .LBB1_356
	s_branch .LBB1_358
	.p2align	6
.LBB1_355:                              ;   in Loop: Header=BB1_280 Depth=1
	s_branch .LBB1_358
.LBB1_356:                              ;   Parent Loop BB1_280 Depth=1
                                        ; =>  This Inner Loop Header: Depth=2
	v_mov_b32_e32 v2, 1
	s_and_saveexec_b32 s1, s0
	s_cbranch_execz .LBB1_353
; %bb.357:                              ;   in Loop: Header=BB1_356 Depth=2
	global_load_b32 v2, v[30:31], off offset:20 glc
	s_waitcnt vmcnt(0)
	buffer_gl1_inv
	buffer_gl0_inv
	v_and_b32_e32 v2, 1, v2
	s_branch .LBB1_353
.LBB1_358:                              ;   in Loop: Header=BB1_280 Depth=1
	global_load_b128 v[0:3], v[0:1], off
	s_and_saveexec_b32 s1, s0
	s_cbranch_execz .LBB1_279
; %bb.359:                              ;   in Loop: Header=BB1_280 Depth=1
	s_clause 0x2
	global_load_b64 v[2:3], v7, s[2:3] offset:40
	global_load_b64 v[14:15], v7, s[2:3] offset:24 glc
	global_load_b64 v[12:13], v7, s[2:3]
	s_waitcnt vmcnt(2)
	v_add_co_u32 v6, vcc_lo, v2, 1
	v_add_co_ci_u32_e32 v16, vcc_lo, 0, v3, vcc_lo
	s_delay_alu instid0(VALU_DEP_2) | instskip(NEXT) | instid1(VALU_DEP_2)
	v_add_co_u32 v10, vcc_lo, v6, s4
	v_add_co_ci_u32_e32 v11, vcc_lo, s5, v16, vcc_lo
	s_delay_alu instid0(VALU_DEP_1) | instskip(SKIP_1) | instid1(VALU_DEP_1)
	v_cmp_eq_u64_e32 vcc_lo, 0, v[10:11]
	v_dual_cndmask_b32 v11, v11, v16 :: v_dual_cndmask_b32 v10, v10, v6
	v_and_b32_e32 v3, v11, v3
	s_delay_alu instid0(VALU_DEP_2) | instskip(NEXT) | instid1(VALU_DEP_1)
	v_and_b32_e32 v2, v10, v2
	v_mul_hi_u32 v6, v2, 24
	v_mul_lo_u32 v2, v2, 24
	s_waitcnt vmcnt(0)
	s_delay_alu instid0(VALU_DEP_1) | instskip(SKIP_2) | instid1(VALU_DEP_1)
	v_add_co_u32 v2, vcc_lo, v12, v2
	v_mov_b32_e32 v12, v14
	v_mul_lo_u32 v3, v3, 24
	v_add_nc_u32_e32 v3, v6, v3
	s_delay_alu instid0(VALU_DEP_1)
	v_add_co_ci_u32_e32 v3, vcc_lo, v13, v3, vcc_lo
	v_mov_b32_e32 v13, v15
	global_store_b64 v[2:3], v[14:15], off
	s_waitcnt_vscnt null, 0x0
	global_atomic_cmpswap_b64 v[12:13], v7, v[10:13], s[2:3] offset:24 glc
	s_waitcnt vmcnt(0)
	v_cmp_ne_u64_e32 vcc_lo, v[12:13], v[14:15]
	s_and_b32 exec_lo, exec_lo, vcc_lo
	s_cbranch_execz .LBB1_279
; %bb.360:                              ;   in Loop: Header=BB1_280 Depth=1
	s_mov_b32 s0, 0
.LBB1_361:                              ;   Parent Loop BB1_280 Depth=1
                                        ; =>  This Inner Loop Header: Depth=2
	s_sleep 1
	global_store_b64 v[2:3], v[12:13], off
	s_waitcnt_vscnt null, 0x0
	global_atomic_cmpswap_b64 v[14:15], v7, v[10:13], s[2:3] offset:24 glc
	s_waitcnt vmcnt(0)
	v_cmp_eq_u64_e32 vcc_lo, v[14:15], v[12:13]
	v_dual_mov_b32 v12, v14 :: v_dual_mov_b32 v13, v15
	s_or_b32 s0, vcc_lo, s0
	s_delay_alu instid0(SALU_CYCLE_1)
	s_and_not1_b32 exec_lo, exec_lo, s0
	s_cbranch_execnz .LBB1_361
	s_branch .LBB1_279
.LBB1_362:
	s_or_b32 exec_lo, exec_lo, s11
                                        ; implicit-def: $vgpr34
                                        ; implicit-def: $vgpr35
.LBB1_363:
	s_and_not1_saveexec_b32 s1, s10
	s_cbranch_execz .LBB1_391
; %bb.364:
	v_readfirstlane_b32 s0, v35
	v_mov_b32_e32 v8, 0
	v_mov_b32_e32 v9, 0
	s_delay_alu instid0(VALU_DEP_3) | instskip(NEXT) | instid1(VALU_DEP_1)
	v_cmp_eq_u32_e64 s0, s0, v35
	s_and_saveexec_b32 s4, s0
	s_cbranch_execz .LBB1_370
; %bb.365:
	s_waitcnt vmcnt(0)
	v_mov_b32_e32 v2, 0
	s_mov_b32 s5, exec_lo
	global_load_b64 v[5:6], v2, s[2:3] offset:24 glc
	s_waitcnt vmcnt(0)
	buffer_gl1_inv
	buffer_gl0_inv
	s_clause 0x1
	global_load_b64 v[3:4], v2, s[2:3] offset:40
	global_load_b64 v[7:8], v2, s[2:3]
	s_waitcnt vmcnt(1)
	v_and_b32_e32 v3, v3, v5
	v_and_b32_e32 v4, v4, v6
	s_delay_alu instid0(VALU_DEP_2) | instskip(NEXT) | instid1(VALU_DEP_2)
	v_mul_hi_u32 v9, v3, 24
	v_mul_lo_u32 v4, v4, 24
	v_mul_lo_u32 v3, v3, 24
	s_delay_alu instid0(VALU_DEP_2) | instskip(SKIP_1) | instid1(VALU_DEP_2)
	v_add_nc_u32_e32 v4, v9, v4
	s_waitcnt vmcnt(0)
	v_add_co_u32 v3, vcc_lo, v7, v3
	s_delay_alu instid0(VALU_DEP_2)
	v_add_co_ci_u32_e32 v4, vcc_lo, v8, v4, vcc_lo
	global_load_b64 v[3:4], v[3:4], off glc
	s_waitcnt vmcnt(0)
	global_atomic_cmpswap_b64 v[8:9], v2, v[3:6], s[2:3] offset:24 glc
	s_waitcnt vmcnt(0)
	buffer_gl1_inv
	buffer_gl0_inv
	v_cmpx_ne_u64_e64 v[8:9], v[5:6]
	s_cbranch_execz .LBB1_369
; %bb.366:
	s_mov_b32 s6, 0
	.p2align	6
.LBB1_367:                              ; =>This Inner Loop Header: Depth=1
	s_sleep 1
	s_clause 0x1
	global_load_b64 v[3:4], v2, s[2:3] offset:40
	global_load_b64 v[10:11], v2, s[2:3]
	v_dual_mov_b32 v5, v8 :: v_dual_mov_b32 v6, v9
	s_waitcnt vmcnt(1)
	s_delay_alu instid0(VALU_DEP_1) | instskip(NEXT) | instid1(VALU_DEP_2)
	v_and_b32_e32 v3, v3, v5
	v_and_b32_e32 v4, v4, v6
	s_waitcnt vmcnt(0)
	s_delay_alu instid0(VALU_DEP_2) | instskip(NEXT) | instid1(VALU_DEP_1)
	v_mad_u64_u32 v[7:8], null, v3, 24, v[10:11]
	v_mov_b32_e32 v3, v8
	s_delay_alu instid0(VALU_DEP_1)
	v_mad_u64_u32 v[8:9], null, v4, 24, v[3:4]
	global_load_b64 v[3:4], v[7:8], off glc
	s_waitcnt vmcnt(0)
	global_atomic_cmpswap_b64 v[8:9], v2, v[3:6], s[2:3] offset:24 glc
	s_waitcnt vmcnt(0)
	buffer_gl1_inv
	buffer_gl0_inv
	v_cmp_eq_u64_e32 vcc_lo, v[8:9], v[5:6]
	s_or_b32 s6, vcc_lo, s6
	s_delay_alu instid0(SALU_CYCLE_1)
	s_and_not1_b32 exec_lo, exec_lo, s6
	s_cbranch_execnz .LBB1_367
; %bb.368:
	s_or_b32 exec_lo, exec_lo, s6
.LBB1_369:
	s_delay_alu instid0(SALU_CYCLE_1)
	s_or_b32 exec_lo, exec_lo, s5
.LBB1_370:
	s_delay_alu instid0(SALU_CYCLE_1)
	s_or_b32 exec_lo, exec_lo, s4
	s_waitcnt vmcnt(0)
	v_mov_b32_e32 v2, 0
	v_readfirstlane_b32 s4, v8
	v_readfirstlane_b32 s5, v9
	s_mov_b32 s10, exec_lo
	s_clause 0x1
	global_load_b64 v[10:11], v2, s[2:3] offset:40
	global_load_b128 v[4:7], v2, s[2:3]
	s_waitcnt vmcnt(1)
	v_readfirstlane_b32 s6, v10
	v_readfirstlane_b32 s7, v11
	s_delay_alu instid0(VALU_DEP_1) | instskip(NEXT) | instid1(SALU_CYCLE_1)
	s_and_b64 s[6:7], s[4:5], s[6:7]
	s_mul_i32 s11, s7, 24
	s_mul_hi_u32 s12, s6, 24
	s_mul_i32 s13, s6, 24
	s_add_i32 s12, s12, s11
	s_waitcnt vmcnt(0)
	v_add_co_u32 v8, vcc_lo, v4, s13
	v_add_co_ci_u32_e32 v9, vcc_lo, s12, v5, vcc_lo
	s_and_saveexec_b32 s11, s0
	s_cbranch_execz .LBB1_372
; %bb.371:
	v_dual_mov_b32 v10, s10 :: v_dual_mov_b32 v11, v2
	v_dual_mov_b32 v12, 2 :: v_dual_mov_b32 v13, 1
	global_store_b128 v[8:9], v[10:13], off offset:8
.LBB1_372:
	s_or_b32 exec_lo, exec_lo, s11
	s_lshl_b64 s[6:7], s[6:7], 12
	s_mov_b32 s12, 0
	v_add_co_u32 v6, vcc_lo, v6, s6
	v_add_co_ci_u32_e32 v7, vcc_lo, s7, v7, vcc_lo
	s_mov_b32 s13, s12
	s_delay_alu instid0(VALU_DEP_2)
	v_readfirstlane_b32 s6, v6
	v_add_co_u32 v6, vcc_lo, v6, v34
	s_mov_b32 s14, s12
	s_mov_b32 s15, s12
	v_and_or_b32 v0, 0xffffff1f, v0, 32
	v_dual_mov_b32 v3, v2 :: v_dual_mov_b32 v10, s12
	v_readfirstlane_b32 s7, v7
	v_add_co_ci_u32_e32 v7, vcc_lo, 0, v7, vcc_lo
	v_dual_mov_b32 v11, s13 :: v_dual_mov_b32 v12, s14
	v_mov_b32_e32 v13, s15
	s_clause 0x3
	global_store_b128 v34, v[0:3], s[6:7]
	global_store_b128 v34, v[10:13], s[6:7] offset:16
	global_store_b128 v34, v[10:13], s[6:7] offset:32
	;; [unrolled: 1-line block ×3, first 2 shown]
	s_and_saveexec_b32 s6, s0
	s_cbranch_execz .LBB1_380
; %bb.373:
	v_dual_mov_b32 v10, 0 :: v_dual_mov_b32 v11, s4
	v_mov_b32_e32 v12, s5
	s_clause 0x1
	global_load_b64 v[13:14], v10, s[2:3] offset:32 glc
	global_load_b64 v[0:1], v10, s[2:3] offset:40
	s_waitcnt vmcnt(0)
	v_readfirstlane_b32 s10, v0
	v_readfirstlane_b32 s11, v1
	s_delay_alu instid0(VALU_DEP_1) | instskip(NEXT) | instid1(SALU_CYCLE_1)
	s_and_b64 s[10:11], s[10:11], s[4:5]
	s_mul_i32 s7, s11, 24
	s_mul_hi_u32 s11, s10, 24
	s_mul_i32 s10, s10, 24
	s_add_i32 s11, s11, s7
	v_add_co_u32 v4, vcc_lo, v4, s10
	v_add_co_ci_u32_e32 v5, vcc_lo, s11, v5, vcc_lo
	s_mov_b32 s7, exec_lo
	global_store_b64 v[4:5], v[13:14], off
	s_waitcnt_vscnt null, 0x0
	global_atomic_cmpswap_b64 v[2:3], v10, v[11:14], s[2:3] offset:32 glc
	s_waitcnt vmcnt(0)
	v_cmpx_ne_u64_e64 v[2:3], v[13:14]
	s_cbranch_execz .LBB1_376
; %bb.374:
	s_mov_b32 s10, 0
.LBB1_375:                              ; =>This Inner Loop Header: Depth=1
	v_dual_mov_b32 v0, s4 :: v_dual_mov_b32 v1, s5
	s_sleep 1
	global_store_b64 v[4:5], v[2:3], off
	s_waitcnt_vscnt null, 0x0
	global_atomic_cmpswap_b64 v[0:1], v10, v[0:3], s[2:3] offset:32 glc
	s_waitcnt vmcnt(0)
	v_cmp_eq_u64_e32 vcc_lo, v[0:1], v[2:3]
	v_dual_mov_b32 v3, v1 :: v_dual_mov_b32 v2, v0
	s_or_b32 s10, vcc_lo, s10
	s_delay_alu instid0(SALU_CYCLE_1)
	s_and_not1_b32 exec_lo, exec_lo, s10
	s_cbranch_execnz .LBB1_375
.LBB1_376:
	s_or_b32 exec_lo, exec_lo, s7
	v_mov_b32_e32 v3, 0
	s_mov_b32 s10, exec_lo
	s_mov_b32 s7, exec_lo
	v_mbcnt_lo_u32_b32 v2, s10, 0
	global_load_b64 v[0:1], v3, s[2:3] offset:16
	v_cmpx_eq_u32_e32 0, v2
	s_cbranch_execz .LBB1_378
; %bb.377:
	s_bcnt1_i32_b32 s10, s10
	s_delay_alu instid0(SALU_CYCLE_1)
	v_mov_b32_e32 v2, s10
	s_waitcnt vmcnt(0)
	global_atomic_add_u64 v[0:1], v[2:3], off offset:8
.LBB1_378:
	s_or_b32 exec_lo, exec_lo, s7
	s_waitcnt vmcnt(0)
	global_load_b64 v[2:3], v[0:1], off offset:16
	s_waitcnt vmcnt(0)
	v_cmp_eq_u64_e32 vcc_lo, 0, v[2:3]
	s_cbranch_vccnz .LBB1_380
; %bb.379:
	global_load_b32 v0, v[0:1], off offset:24
	s_waitcnt vmcnt(0)
	v_dual_mov_b32 v1, 0 :: v_dual_and_b32 v4, 0xffffff, v0
	s_waitcnt_vscnt null, 0x0
	global_store_b64 v[2:3], v[0:1], off
	v_readfirstlane_b32 m0, v4
	s_sendmsg sendmsg(MSG_INTERRUPT)
.LBB1_380:
	s_or_b32 exec_lo, exec_lo, s6
	s_branch .LBB1_384
	.p2align	6
.LBB1_381:                              ;   in Loop: Header=BB1_384 Depth=1
	s_or_b32 exec_lo, exec_lo, s6
	s_delay_alu instid0(VALU_DEP_1) | instskip(NEXT) | instid1(VALU_DEP_1)
	v_readfirstlane_b32 s6, v0
	s_cmp_eq_u32 s6, 0
	s_cbranch_scc1 .LBB1_383
; %bb.382:                              ;   in Loop: Header=BB1_384 Depth=1
	s_sleep 1
	s_cbranch_execnz .LBB1_384
	s_branch .LBB1_386
	.p2align	6
.LBB1_383:
	s_branch .LBB1_386
.LBB1_384:                              ; =>This Inner Loop Header: Depth=1
	v_mov_b32_e32 v0, 1
	s_and_saveexec_b32 s6, s0
	s_cbranch_execz .LBB1_381
; %bb.385:                              ;   in Loop: Header=BB1_384 Depth=1
	global_load_b32 v0, v[8:9], off offset:20 glc
	s_waitcnt vmcnt(0)
	buffer_gl1_inv
	buffer_gl0_inv
	v_and_b32_e32 v0, 1, v0
	s_branch .LBB1_381
.LBB1_386:
	global_load_b64 v[0:1], v[6:7], off
	s_and_saveexec_b32 s6, s0
	s_cbranch_execz .LBB1_390
; %bb.387:
	v_mov_b32_e32 v8, 0
	s_clause 0x2
	global_load_b64 v[4:5], v8, s[2:3] offset:40
	global_load_b64 v[9:10], v8, s[2:3] offset:24 glc
	global_load_b64 v[6:7], v8, s[2:3]
	s_waitcnt vmcnt(2)
	v_add_co_u32 v11, vcc_lo, v4, 1
	v_add_co_ci_u32_e32 v12, vcc_lo, 0, v5, vcc_lo
	s_delay_alu instid0(VALU_DEP_2) | instskip(NEXT) | instid1(VALU_DEP_2)
	v_add_co_u32 v2, vcc_lo, v11, s4
	v_add_co_ci_u32_e32 v3, vcc_lo, s5, v12, vcc_lo
	s_delay_alu instid0(VALU_DEP_1) | instskip(SKIP_1) | instid1(VALU_DEP_1)
	v_cmp_eq_u64_e32 vcc_lo, 0, v[2:3]
	v_dual_cndmask_b32 v3, v3, v12 :: v_dual_cndmask_b32 v2, v2, v11
	v_and_b32_e32 v5, v3, v5
	s_delay_alu instid0(VALU_DEP_2) | instskip(NEXT) | instid1(VALU_DEP_2)
	v_and_b32_e32 v4, v2, v4
	v_mul_lo_u32 v5, v5, 24
	s_delay_alu instid0(VALU_DEP_2) | instskip(SKIP_1) | instid1(VALU_DEP_2)
	v_mul_hi_u32 v11, v4, 24
	v_mul_lo_u32 v4, v4, 24
	v_add_nc_u32_e32 v5, v11, v5
	s_waitcnt vmcnt(0)
	s_delay_alu instid0(VALU_DEP_2) | instskip(SKIP_1) | instid1(VALU_DEP_3)
	v_add_co_u32 v6, vcc_lo, v6, v4
	v_mov_b32_e32 v4, v9
	v_add_co_ci_u32_e32 v7, vcc_lo, v7, v5, vcc_lo
	v_mov_b32_e32 v5, v10
	global_store_b64 v[6:7], v[9:10], off
	s_waitcnt_vscnt null, 0x0
	global_atomic_cmpswap_b64 v[4:5], v8, v[2:5], s[2:3] offset:24 glc
	s_waitcnt vmcnt(0)
	v_cmp_ne_u64_e32 vcc_lo, v[4:5], v[9:10]
	s_and_b32 exec_lo, exec_lo, vcc_lo
	s_cbranch_execz .LBB1_390
; %bb.388:
	s_mov_b32 s0, 0
.LBB1_389:                              ; =>This Inner Loop Header: Depth=1
	s_sleep 1
	global_store_b64 v[6:7], v[4:5], off
	s_waitcnt_vscnt null, 0x0
	global_atomic_cmpswap_b64 v[9:10], v8, v[2:5], s[2:3] offset:24 glc
	s_waitcnt vmcnt(0)
	v_cmp_eq_u64_e32 vcc_lo, v[9:10], v[4:5]
	v_dual_mov_b32 v4, v9 :: v_dual_mov_b32 v5, v10
	s_or_b32 s0, vcc_lo, s0
	s_delay_alu instid0(SALU_CYCLE_1)
	s_and_not1_b32 exec_lo, exec_lo, s0
	s_cbranch_execnz .LBB1_389
.LBB1_390:
	s_or_b32 exec_lo, exec_lo, s6
.LBB1_391:
	s_delay_alu instid0(SALU_CYCLE_1)
	s_or_b32 exec_lo, exec_lo, s1
	s_getpc_b64 s[0:1]
	s_add_u32 s0, s0, .str.1@rel32@lo+4
	s_addc_u32 s1, s1, .str.1@rel32@hi+12
	s_getpc_b64 s[2:3]
	s_add_u32 s2, s2, .str.1@rel32@lo+32
	s_addc_u32 s3, s3, .str.1@rel32@hi+40
	s_sub_i32 s4, s2, s0
	s_getpc_b64 s[2:3]
	s_add_u32 s2, s2, __ockl_fprintf_append_string_n@rel32@lo+4
	s_addc_u32 s3, s3, __ockl_fprintf_append_string_n@rel32@hi+12
	s_ashr_i32 s5, s4, 31
	s_waitcnt vmcnt(0)
	v_dual_mov_b32 v2, s0 :: v_dual_mov_b32 v3, s1
	v_dual_mov_b32 v4, s4 :: v_dual_mov_b32 v5, s5
	v_mov_b32_e32 v6, 1
	s_swappc_b64 s[30:31], s[2:3]
	s_trap 2
	s_sendmsg_rtn_b32 s0, sendmsg(MSG_RTN_GET_DOORBELL)
	s_mov_b32 ttmp2, m0
	s_waitcnt lgkmcnt(0)
	s_and_b32 s0, s0, 0x3ff
	s_delay_alu instid0(SALU_CYCLE_1) | instskip(NEXT) | instid1(SALU_CYCLE_1)
	s_bitset1_b32 s0, 10
	s_mov_b32 m0, s0
	s_sendmsg sendmsg(MSG_INTERRUPT)
	s_mov_b32 m0, ttmp2
.LBB1_392:                              ; =>This Inner Loop Header: Depth=1
	s_sethalt 5
	s_branch .LBB1_392
.Lfunc_end1:
	.size	__assert_fail, .Lfunc_end1-__assert_fail
                                        ; -- End function
	.section	.AMDGPU.csdata,"",@progbits
; Function info:
; codeLenInByte = 16148
; NumSgprs: 36
; NumVgprs: 41
; ScratchSize: 64
; MemoryBound: 0
	.text
	.p2align	2                               ; -- Begin function _ZN12_GLOBAL__N_17runRingIa7FuncSumIaE11ProtoSimpleILi2ELi2ELi0ELi1ELi0ELi0EELi0ELi1ELi0EEEviiP15ncclDevWorkColl
	.type	_ZN12_GLOBAL__N_17runRingIa7FuncSumIaE11ProtoSimpleILi2ELi2ELi0ELi1ELi0ELi0EELi0ELi1ELi0EEEviiP15ncclDevWorkColl,@function
_ZN12_GLOBAL__N_17runRingIa7FuncSumIaE11ProtoSimpleILi2ELi2ELi0ELi1ELi0ELi0EELi0ELi1ELi0EEEviiP15ncclDevWorkColl: ; @_ZN12_GLOBAL__N_17runRingIa7FuncSumIaE11ProtoSimpleILi2ELi2ELi0ELi1ELi0ELi0EELi0ELi1ELi0EEEviiP15ncclDevWorkColl
; %bb.0:
	s_waitcnt vmcnt(0) expcnt(0) lgkmcnt(0)
	s_mov_b32 s0, s33
	s_mov_b32 s33, s32
	s_or_saveexec_b32 s1, -1
	scratch_store_b32 off, v41, s33 offset:4 ; 4-byte Folded Spill
	s_mov_b32 exec_lo, s1
	v_writelane_b32 v41, s0, 10
	s_add_i32 s32, s32, 16
	scratch_store_b32 off, v40, s33         ; 4-byte Folded Spill
	v_writelane_b32 v41, s34, 0
	v_writelane_b32 v41, s35, 1
	;; [unrolled: 1-line block ×10, first 2 shown]
	s_cbranch_execnz .LBB2_704
; %bb.1:
	s_clause 0x2
	flat_load_b32 v10, v[2:3]
	flat_load_b128 v[4:7], v[2:3] offset:72
	flat_load_b64 v[8:9], v[2:3] offset:88
	ds_load_b32 v14, v0
	s_mov_b32 s0, exec_lo
                                        ; implicit-def: $vgpr27_vgpr28
	s_waitcnt lgkmcnt(0)
	v_readfirstlane_b32 s13, v14
	s_waitcnt vmcnt(2)
	v_and_b32_e32 v12, 0xff, v10
	v_bfe_u32 v13, v10, 8, 8
	s_delay_alu instid0(VALU_DEP_2)
	v_cmpx_ne_u32_e64 v14, v12
	s_xor_b32 s0, exec_lo, s0
	s_cbranch_execz .LBB2_7
; %bb.2:
	flat_load_b64 v[10:11], v[2:3] offset:96
	s_mov_b32 s1, exec_lo
                                        ; implicit-def: $vgpr27_vgpr28
	v_cmpx_ne_u32_e64 v13, v14
	s_xor_b32 s1, exec_lo, s1
	s_cbranch_execz .LBB2_4
; %bb.3:
	s_waitcnt vmcnt(0) lgkmcnt(0)
	v_lshrrev_b64 v[27:28], 12, v[10:11]
                                        ; implicit-def: $vgpr10_vgpr11
.LBB2_4:
	s_and_not1_saveexec_b32 s1, s1
	s_cbranch_execz .LBB2_6
; %bb.5:
	s_waitcnt vmcnt(0) lgkmcnt(0)
	v_lshrrev_b32_e32 v27, 1, v11
.LBB2_6:
	s_or_b32 exec_lo, exec_lo, s1
.LBB2_7:
	s_and_not1_saveexec_b32 s0, s0
	s_cbranch_execz .LBB2_9
; %bb.8:
	s_waitcnt vmcnt(0) lgkmcnt(0)
	flat_load_b64 v[10:11], v[2:3] offset:96
	s_waitcnt vmcnt(0) lgkmcnt(0)
	v_lshlrev_b64 v[27:28], 9, v[10:11]
.LBB2_9:
	s_or_b32 exec_lo, exec_lo, s0
	flat_load_u16 v15, v[2:3] offset:8
	v_xad_u32 v16, v12, -1, v13
	v_sub_nc_u32_e32 v26, v14, v12
                                        ; implicit-def: $vgpr28_vgpr29
	s_mov_b32 s0, exec_lo
	s_delay_alu instid0(VALU_DEP_2)
	v_ashrrev_i32_e32 v17, 31, v16
	s_waitcnt vmcnt(2)
	v_mul_lo_u32 v7, v7, v16
	s_waitcnt vmcnt(1) lgkmcnt(1)
	v_mad_u64_u32 v[10:11], null, v6, v16, v[4:5]
	v_mul_lo_u32 v4, v6, v17
	s_delay_alu instid0(VALU_DEP_2) | instskip(NEXT) | instid1(VALU_DEP_2)
	v_add_co_u32 v96, vcc_lo, v10, v8
	v_add3_u32 v4, v7, v11, v4
	s_delay_alu instid0(VALU_DEP_1) | instskip(NEXT) | instid1(VALU_DEP_3)
	v_add_co_ci_u32_e32 v97, vcc_lo, v4, v9, vcc_lo
	v_sub_co_u32 v6, vcc_lo, 0, v96
	v_sub_nc_u32_e32 v9, 0, v26
	s_delay_alu instid0(VALU_DEP_3) | instskip(NEXT) | instid1(VALU_DEP_3)
	v_sub_co_ci_u32_e32 v4, vcc_lo, 0, v97, vcc_lo
	v_and_b32_e32 v6, v96, v6
	s_delay_alu instid0(VALU_DEP_3) | instskip(NEXT) | instid1(VALU_DEP_3)
	v_max_i32_e32 v35, v26, v9
	v_and_b32_e32 v4, v97, v4
	s_delay_alu instid0(VALU_DEP_3) | instskip(NEXT) | instid1(VALU_DEP_2)
	v_cvt_f64_u32_e32 v[6:7], v6
	v_cvt_f64_u32_e32 v[4:5], v4
	s_delay_alu instid0(VALU_DEP_1) | instskip(NEXT) | instid1(VALU_DEP_1)
	v_ldexp_f64 v[4:5], v[4:5], 32
	v_add_f64 v[4:5], v[4:5], v[6:7]
	s_delay_alu instid0(VALU_DEP_1) | instskip(NEXT) | instid1(VALU_DEP_1)
	v_min_f64 v[4:5], 0x40700000, v[4:5]
	v_cvt_i32_f64_e32 v52, v[4:5]
	s_delay_alu instid0(VALU_DEP_1) | instskip(SKIP_2) | instid1(VALU_DEP_1)
	v_ashrrev_i32_e32 v53, 31, v52
	s_waitcnt vmcnt(0) lgkmcnt(0)
	v_lshrrev_b32_e32 v34, 1, v15
	v_lshlrev_b32_e32 v7, 1, v34
	s_delay_alu instid0(VALU_DEP_1) | instskip(NEXT) | instid1(VALU_DEP_1)
	v_sub_nc_u32_e32 v6, 0, v7
	v_max_i32_e32 v4, v7, v6
	v_or_b32_e32 v6, v97, v53
	s_delay_alu instid0(VALU_DEP_2) | instskip(NEXT) | instid1(VALU_DEP_1)
	v_cvt_f32_u32_e32 v5, v4
	v_rcp_iflag_f32_e32 v5, v5
	s_waitcnt_depctr 0xfff
	v_mul_f32_e32 v5, 0x4f7ffffe, v5
	s_delay_alu instid0(VALU_DEP_1) | instskip(SKIP_1) | instid1(VALU_DEP_1)
	v_cvt_u32_f32_e32 v8, v5
	v_sub_nc_u32_e32 v5, 0, v4
	v_mul_lo_u32 v5, v5, v8
	s_delay_alu instid0(VALU_DEP_1) | instskip(NEXT) | instid1(VALU_DEP_1)
	v_mul_hi_u32 v10, v8, v5
	v_dual_mov_b32 v5, 0 :: v_dual_add_nc_u32 v8, v8, v10
	s_delay_alu instid0(VALU_DEP_1)
	v_cmpx_ne_u64_e32 0, v[5:6]
	s_xor_b32 s1, exec_lo, s0
	s_cbranch_execz .LBB2_11
; %bb.10:
	v_cvt_f32_u32_e32 v5, v52
	v_cvt_f32_u32_e32 v6, v53
	v_sub_co_u32 v11, vcc_lo, 0, v52
	v_sub_co_ci_u32_e32 v16, vcc_lo, 0, v53, vcc_lo
	s_delay_alu instid0(VALU_DEP_3) | instskip(NEXT) | instid1(VALU_DEP_1)
	v_fmamk_f32 v5, v6, 0x4f800000, v5
	v_rcp_f32_e32 v5, v5
	s_waitcnt_depctr 0xfff
	v_mul_f32_e32 v5, 0x5f7ffffc, v5
	s_delay_alu instid0(VALU_DEP_1) | instskip(NEXT) | instid1(VALU_DEP_1)
	v_mul_f32_e32 v6, 0x2f800000, v5
	v_trunc_f32_e32 v6, v6
	s_delay_alu instid0(VALU_DEP_1) | instskip(SKIP_1) | instid1(VALU_DEP_2)
	v_fmamk_f32 v5, v6, 0xcf800000, v5
	v_cvt_u32_f32_e32 v17, v6
	v_cvt_u32_f32_e32 v18, v5
	s_delay_alu instid0(VALU_DEP_2) | instskip(NEXT) | instid1(VALU_DEP_2)
	v_mul_lo_u32 v9, v11, v17
	v_mul_lo_u32 v10, v16, v18
	v_mad_u64_u32 v[5:6], null, v11, v18, 0
	s_delay_alu instid0(VALU_DEP_1) | instskip(NEXT) | instid1(VALU_DEP_2)
	v_add3_u32 v19, v6, v9, v10
	v_mul_hi_u32 v20, v18, v5
	v_mad_u64_u32 v[14:15], null, v17, v5, 0
	s_delay_alu instid0(VALU_DEP_3) | instskip(SKIP_1) | instid1(VALU_DEP_2)
	v_mad_u64_u32 v[9:10], null, v18, v19, 0
	v_mad_u64_u32 v[5:6], null, v17, v19, 0
	v_add_co_u32 v9, vcc_lo, v20, v9
	s_delay_alu instid0(VALU_DEP_3) | instskip(NEXT) | instid1(VALU_DEP_2)
	v_add_co_ci_u32_e32 v10, vcc_lo, 0, v10, vcc_lo
	v_add_co_u32 v9, vcc_lo, v9, v14
	s_delay_alu instid0(VALU_DEP_2) | instskip(SKIP_1) | instid1(VALU_DEP_2)
	v_add_co_ci_u32_e32 v9, vcc_lo, v10, v15, vcc_lo
	v_add_co_ci_u32_e32 v6, vcc_lo, 0, v6, vcc_lo
	v_add_co_u32 v5, vcc_lo, v9, v5
	s_delay_alu instid0(VALU_DEP_2) | instskip(NEXT) | instid1(VALU_DEP_2)
	v_add_co_ci_u32_e32 v6, vcc_lo, 0, v6, vcc_lo
	v_add_co_u32 v18, vcc_lo, v18, v5
	s_delay_alu instid0(VALU_DEP_2) | instskip(NEXT) | instid1(VALU_DEP_2)
	v_add_co_ci_u32_e32 v17, vcc_lo, v17, v6, vcc_lo
	v_mul_lo_u32 v9, v16, v18
	v_mad_u64_u32 v[5:6], null, v11, v18, 0
	s_delay_alu instid0(VALU_DEP_3) | instskip(NEXT) | instid1(VALU_DEP_2)
	v_mul_lo_u32 v10, v11, v17
	v_mul_hi_u32 v16, v18, v5
	v_mad_u64_u32 v[14:15], null, v17, v5, 0
	s_delay_alu instid0(VALU_DEP_3) | instskip(NEXT) | instid1(VALU_DEP_1)
	v_add3_u32 v11, v6, v10, v9
	v_mad_u64_u32 v[9:10], null, v18, v11, 0
	v_mad_u64_u32 v[5:6], null, v17, v11, 0
	s_delay_alu instid0(VALU_DEP_2) | instskip(NEXT) | instid1(VALU_DEP_3)
	v_add_co_u32 v9, vcc_lo, v16, v9
	v_add_co_ci_u32_e32 v10, vcc_lo, 0, v10, vcc_lo
	s_delay_alu instid0(VALU_DEP_2) | instskip(NEXT) | instid1(VALU_DEP_2)
	v_add_co_u32 v9, vcc_lo, v9, v14
	v_add_co_ci_u32_e32 v9, vcc_lo, v10, v15, vcc_lo
	v_add_co_ci_u32_e32 v6, vcc_lo, 0, v6, vcc_lo
	s_delay_alu instid0(VALU_DEP_2) | instskip(NEXT) | instid1(VALU_DEP_2)
	v_add_co_u32 v5, vcc_lo, v9, v5
	v_add_co_ci_u32_e32 v6, vcc_lo, 0, v6, vcc_lo
	s_delay_alu instid0(VALU_DEP_2) | instskip(NEXT) | instid1(VALU_DEP_2)
	v_add_co_u32 v11, vcc_lo, v18, v5
	v_add_co_ci_u32_e32 v16, vcc_lo, v17, v6, vcc_lo
	s_delay_alu instid0(VALU_DEP_2) | instskip(SKIP_1) | instid1(VALU_DEP_3)
	v_mul_hi_u32 v17, v96, v11
	v_mad_u64_u32 v[9:10], null, v97, v11, 0
	v_mad_u64_u32 v[5:6], null, v96, v16, 0
	;; [unrolled: 1-line block ×3, first 2 shown]
	s_delay_alu instid0(VALU_DEP_2) | instskip(NEXT) | instid1(VALU_DEP_3)
	v_add_co_u32 v5, vcc_lo, v17, v5
	v_add_co_ci_u32_e32 v6, vcc_lo, 0, v6, vcc_lo
	s_delay_alu instid0(VALU_DEP_2) | instskip(NEXT) | instid1(VALU_DEP_2)
	v_add_co_u32 v5, vcc_lo, v5, v9
	v_add_co_ci_u32_e32 v5, vcc_lo, v6, v10, vcc_lo
	v_add_co_ci_u32_e32 v6, vcc_lo, 0, v15, vcc_lo
	s_delay_alu instid0(VALU_DEP_2) | instskip(NEXT) | instid1(VALU_DEP_2)
	v_add_co_u32 v9, vcc_lo, v5, v14
	v_add_co_ci_u32_e32 v10, vcc_lo, 0, v6, vcc_lo
	s_delay_alu instid0(VALU_DEP_2) | instskip(SKIP_1) | instid1(VALU_DEP_3)
	v_mul_lo_u32 v11, v53, v9
	v_mad_u64_u32 v[5:6], null, v52, v9, 0
	v_mul_lo_u32 v14, v52, v10
	s_delay_alu instid0(VALU_DEP_2) | instskip(NEXT) | instid1(VALU_DEP_2)
	v_sub_co_u32 v5, vcc_lo, v96, v5
	v_add3_u32 v6, v6, v14, v11
	s_delay_alu instid0(VALU_DEP_1) | instskip(NEXT) | instid1(VALU_DEP_1)
	v_sub_nc_u32_e32 v11, v97, v6
	v_sub_co_ci_u32_e64 v11, s0, v11, v53, vcc_lo
	v_add_co_u32 v14, s0, v9, 2
	s_delay_alu instid0(VALU_DEP_1) | instskip(SKIP_3) | instid1(VALU_DEP_3)
	v_add_co_ci_u32_e64 v15, s0, 0, v10, s0
	v_sub_co_u32 v16, s0, v5, v52
	v_sub_co_ci_u32_e32 v6, vcc_lo, v97, v6, vcc_lo
	v_subrev_co_ci_u32_e64 v11, s0, 0, v11, s0
	v_cmp_ge_u32_e32 vcc_lo, v16, v52
	s_delay_alu instid0(VALU_DEP_3) | instskip(SKIP_1) | instid1(VALU_DEP_4)
	v_cmp_eq_u32_e64 s0, v6, v53
	v_cndmask_b32_e64 v16, 0, -1, vcc_lo
	v_cmp_ge_u32_e32 vcc_lo, v11, v53
	v_cndmask_b32_e64 v17, 0, -1, vcc_lo
	v_cmp_ge_u32_e32 vcc_lo, v5, v52
	;; [unrolled: 2-line block ×3, first 2 shown]
	v_cndmask_b32_e64 v18, 0, -1, vcc_lo
	v_cmp_eq_u32_e32 vcc_lo, v11, v53
	s_delay_alu instid0(VALU_DEP_2) | instskip(SKIP_3) | instid1(VALU_DEP_3)
	v_cndmask_b32_e64 v5, v18, v5, s0
	v_cndmask_b32_e32 v11, v17, v16, vcc_lo
	v_add_co_u32 v16, vcc_lo, v9, 1
	v_add_co_ci_u32_e32 v17, vcc_lo, 0, v10, vcc_lo
	v_cmp_ne_u32_e32 vcc_lo, 0, v11
	s_delay_alu instid0(VALU_DEP_2) | instskip(SKIP_1) | instid1(VALU_DEP_2)
	v_dual_cndmask_b32 v6, v17, v15 :: v_dual_cndmask_b32 v11, v16, v14
	v_cmp_ne_u32_e32 vcc_lo, 0, v5
	v_dual_cndmask_b32 v29, v10, v6 :: v_dual_cndmask_b32 v28, v9, v11
.LBB2_11:
	s_or_saveexec_b32 s0, s1
	v_mad_u64_u32 v[5:6], null, v35, v8, 0
	s_xor_b32 exec_lo, exec_lo, s0
	s_cbranch_execz .LBB2_13
; %bb.12:
	v_cvt_f32_u32_e32 v5, v52
	v_sub_nc_u32_e32 v8, 0, v52
	v_mov_b32_e32 v29, 0
	s_delay_alu instid0(VALU_DEP_3) | instskip(SKIP_2) | instid1(VALU_DEP_1)
	v_rcp_iflag_f32_e32 v5, v5
	s_waitcnt_depctr 0xfff
	v_mul_f32_e32 v5, 0x4f7ffffe, v5
	v_cvt_u32_f32_e32 v5, v5
	s_delay_alu instid0(VALU_DEP_1) | instskip(NEXT) | instid1(VALU_DEP_1)
	v_mul_lo_u32 v8, v8, v5
	v_mul_hi_u32 v8, v5, v8
	s_delay_alu instid0(VALU_DEP_1) | instskip(NEXT) | instid1(VALU_DEP_1)
	v_add_nc_u32_e32 v5, v5, v8
	v_mul_hi_u32 v5, v96, v5
	s_delay_alu instid0(VALU_DEP_1) | instskip(SKIP_1) | instid1(VALU_DEP_2)
	v_mul_lo_u32 v8, v5, v52
	v_add_nc_u32_e32 v9, 1, v5
	v_sub_nc_u32_e32 v8, v96, v8
	s_delay_alu instid0(VALU_DEP_1) | instskip(SKIP_1) | instid1(VALU_DEP_2)
	v_sub_nc_u32_e32 v10, v8, v52
	v_cmp_ge_u32_e32 vcc_lo, v8, v52
	v_dual_cndmask_b32 v8, v8, v10 :: v_dual_cndmask_b32 v5, v5, v9
	s_delay_alu instid0(VALU_DEP_1) | instskip(NEXT) | instid1(VALU_DEP_2)
	v_cmp_ge_u32_e32 vcc_lo, v8, v52
	v_add_nc_u32_e32 v9, 1, v5
	s_delay_alu instid0(VALU_DEP_1)
	v_cndmask_b32_e32 v28, v5, v9, vcc_lo
.LBB2_13:
	s_or_b32 exec_lo, exec_lo, s0
	v_sub_nc_u32_e32 v5, v13, v12
                                        ; implicit-def: $vgpr50_vgpr51
	s_mov_b32 s0, exec_lo
	s_delay_alu instid0(VALU_DEP_1) | instskip(NEXT) | instid1(VALU_DEP_1)
	v_add_nc_u16 v5, v5, 1
	v_lshrrev_b16 v8, 15, v5
	s_delay_alu instid0(VALU_DEP_1) | instskip(SKIP_1) | instid1(VALU_DEP_2)
	v_add_nc_u16 v5, v5, v8
	v_mov_b32_e32 v8, 0
	v_ashrrev_i16 v5, 1, v5
	s_delay_alu instid0(VALU_DEP_1) | instskip(NEXT) | instid1(VALU_DEP_1)
	v_bfe_i32 v36, v5, 0, 16
	v_ashrrev_i32_e32 v5, 31, v36
	s_delay_alu instid0(VALU_DEP_1) | instskip(NEXT) | instid1(VALU_DEP_1)
	v_or_b32_e32 v9, v29, v5
	v_cmpx_ne_u64_e32 0, v[8:9]
	s_xor_b32 s1, exec_lo, s0
	s_cbranch_execz .LBB2_15
; %bb.14:
	v_mov_b32_e32 v15, v5
	v_mov_b32_e32 v16, v5
	s_delay_alu instid0(VALU_DEP_2) | instskip(NEXT) | instid1(VALU_DEP_2)
	v_add_co_u32 v8, vcc_lo, v36, v15
	v_add_co_ci_u32_e32 v5, vcc_lo, v5, v16, vcc_lo
	s_delay_alu instid0(VALU_DEP_2) | instskip(NEXT) | instid1(VALU_DEP_2)
	v_xor_b32_e32 v17, v8, v15
	v_xor_b32_e32 v5, v5, v16
	s_delay_alu instid0(VALU_DEP_2) | instskip(SKIP_1) | instid1(VALU_DEP_3)
	v_cvt_f32_u32_e32 v8, v17
	v_sub_co_u32 v18, vcc_lo, 0, v17
	v_cvt_f32_u32_e32 v9, v5
	v_sub_co_ci_u32_e32 v19, vcc_lo, 0, v5, vcc_lo
	s_delay_alu instid0(VALU_DEP_2) | instskip(NEXT) | instid1(VALU_DEP_1)
	v_fmamk_f32 v8, v9, 0x4f800000, v8
	v_rcp_f32_e32 v8, v8
	s_waitcnt_depctr 0xfff
	v_mul_f32_e32 v8, 0x5f7ffffc, v8
	s_delay_alu instid0(VALU_DEP_1) | instskip(NEXT) | instid1(VALU_DEP_1)
	v_mul_f32_e32 v9, 0x2f800000, v8
	v_trunc_f32_e32 v9, v9
	s_delay_alu instid0(VALU_DEP_1) | instskip(SKIP_1) | instid1(VALU_DEP_2)
	v_fmamk_f32 v8, v9, 0xcf800000, v8
	v_cvt_u32_f32_e32 v20, v9
	v_cvt_u32_f32_e32 v21, v8
	s_delay_alu instid0(VALU_DEP_2) | instskip(NEXT) | instid1(VALU_DEP_2)
	v_mul_lo_u32 v10, v18, v20
	v_mul_lo_u32 v11, v19, v21
	v_mad_u64_u32 v[8:9], null, v18, v21, 0
	s_delay_alu instid0(VALU_DEP_1) | instskip(NEXT) | instid1(VALU_DEP_2)
	v_add3_u32 v22, v9, v10, v11
	v_mul_hi_u32 v23, v21, v8
	v_mad_u64_u32 v[11:12], null, v20, v8, 0
	s_delay_alu instid0(VALU_DEP_3) | instskip(SKIP_1) | instid1(VALU_DEP_2)
	v_mad_u64_u32 v[9:10], null, v21, v22, 0
	v_mad_u64_u32 v[13:14], null, v20, v22, 0
	v_add_co_u32 v8, vcc_lo, v23, v9
	s_delay_alu instid0(VALU_DEP_3) | instskip(NEXT) | instid1(VALU_DEP_2)
	v_add_co_ci_u32_e32 v9, vcc_lo, 0, v10, vcc_lo
	v_add_co_u32 v8, vcc_lo, v8, v11
	s_delay_alu instid0(VALU_DEP_2) | instskip(SKIP_1) | instid1(VALU_DEP_2)
	v_add_co_ci_u32_e32 v8, vcc_lo, v9, v12, vcc_lo
	v_add_co_ci_u32_e32 v9, vcc_lo, 0, v14, vcc_lo
	v_add_co_u32 v8, vcc_lo, v8, v13
	s_delay_alu instid0(VALU_DEP_2) | instskip(NEXT) | instid1(VALU_DEP_2)
	v_add_co_ci_u32_e32 v9, vcc_lo, 0, v9, vcc_lo
	v_add_co_u32 v21, vcc_lo, v21, v8
	s_delay_alu instid0(VALU_DEP_2) | instskip(NEXT) | instid1(VALU_DEP_2)
	v_add_co_ci_u32_e32 v20, vcc_lo, v20, v9, vcc_lo
	v_mul_lo_u32 v10, v19, v21
	v_mad_u64_u32 v[8:9], null, v18, v21, 0
	s_delay_alu instid0(VALU_DEP_3) | instskip(NEXT) | instid1(VALU_DEP_2)
	v_mul_lo_u32 v11, v18, v20
	v_mul_hi_u32 v19, v21, v8
	s_delay_alu instid0(VALU_DEP_2) | instskip(SKIP_1) | instid1(VALU_DEP_2)
	v_add3_u32 v18, v9, v11, v10
	v_mad_u64_u32 v[11:12], null, v20, v8, 0
	v_mad_u64_u32 v[9:10], null, v21, v18, 0
	;; [unrolled: 1-line block ×3, first 2 shown]
	v_ashrrev_i32_e32 v18, 31, v29
	s_delay_alu instid0(VALU_DEP_3) | instskip(NEXT) | instid1(VALU_DEP_4)
	v_add_co_u32 v8, vcc_lo, v19, v9
	v_add_co_ci_u32_e32 v9, vcc_lo, 0, v10, vcc_lo
	s_delay_alu instid0(VALU_DEP_2) | instskip(NEXT) | instid1(VALU_DEP_2)
	v_add_co_u32 v8, vcc_lo, v8, v11
	v_add_co_ci_u32_e32 v8, vcc_lo, v9, v12, vcc_lo
	v_add_co_ci_u32_e32 v9, vcc_lo, 0, v14, vcc_lo
	v_add_co_u32 v10, vcc_lo, v28, v18
	v_add_co_ci_u32_e32 v11, vcc_lo, v29, v18, vcc_lo
	s_delay_alu instid0(VALU_DEP_4) | instskip(NEXT) | instid1(VALU_DEP_4)
	v_add_co_u32 v8, vcc_lo, v8, v13
	v_add_co_ci_u32_e32 v9, vcc_lo, 0, v9, vcc_lo
	s_delay_alu instid0(VALU_DEP_4) | instskip(NEXT) | instid1(VALU_DEP_3)
	v_xor_b32_e32 v14, v10, v18
	v_add_co_u32 v12, vcc_lo, v21, v8
	s_delay_alu instid0(VALU_DEP_3) | instskip(SKIP_1) | instid1(VALU_DEP_3)
	v_add_co_ci_u32_e32 v19, vcc_lo, v20, v9, vcc_lo
	v_xor_b32_e32 v20, v11, v18
	v_mul_hi_u32 v21, v14, v12
	s_delay_alu instid0(VALU_DEP_3) | instskip(NEXT) | instid1(VALU_DEP_3)
	v_mad_u64_u32 v[8:9], null, v14, v19, 0
	v_mad_u64_u32 v[10:11], null, v20, v12, 0
	;; [unrolled: 1-line block ×3, first 2 shown]
	s_delay_alu instid0(VALU_DEP_3) | instskip(NEXT) | instid1(VALU_DEP_4)
	v_add_co_u32 v8, vcc_lo, v21, v8
	v_add_co_ci_u32_e32 v9, vcc_lo, 0, v9, vcc_lo
	s_delay_alu instid0(VALU_DEP_2) | instskip(NEXT) | instid1(VALU_DEP_2)
	v_add_co_u32 v8, vcc_lo, v8, v10
	v_add_co_ci_u32_e32 v8, vcc_lo, v9, v11, vcc_lo
	v_add_co_ci_u32_e32 v9, vcc_lo, 0, v13, vcc_lo
	s_delay_alu instid0(VALU_DEP_2) | instskip(NEXT) | instid1(VALU_DEP_2)
	v_add_co_u32 v10, vcc_lo, v8, v12
	v_add_co_ci_u32_e32 v11, vcc_lo, 0, v9, vcc_lo
	s_delay_alu instid0(VALU_DEP_2) | instskip(SKIP_1) | instid1(VALU_DEP_3)
	v_mul_lo_u32 v12, v5, v10
	v_mad_u64_u32 v[8:9], null, v17, v10, 0
	v_mul_lo_u32 v13, v17, v11
	s_delay_alu instid0(VALU_DEP_2) | instskip(NEXT) | instid1(VALU_DEP_2)
	v_sub_co_u32 v8, vcc_lo, v14, v8
	v_add3_u32 v9, v9, v13, v12
	s_delay_alu instid0(VALU_DEP_1) | instskip(NEXT) | instid1(VALU_DEP_1)
	v_sub_nc_u32_e32 v12, v20, v9
	v_sub_co_ci_u32_e64 v12, s0, v12, v5, vcc_lo
	v_add_co_u32 v13, s0, v10, 2
	s_delay_alu instid0(VALU_DEP_1) | instskip(SKIP_3) | instid1(VALU_DEP_3)
	v_add_co_ci_u32_e64 v14, s0, 0, v11, s0
	v_sub_co_u32 v19, s0, v8, v17
	v_sub_co_ci_u32_e32 v9, vcc_lo, v20, v9, vcc_lo
	v_subrev_co_ci_u32_e64 v12, s0, 0, v12, s0
	v_cmp_ge_u32_e32 vcc_lo, v19, v17
	s_delay_alu instid0(VALU_DEP_3) | instskip(SKIP_1) | instid1(VALU_DEP_4)
	v_cmp_eq_u32_e64 s0, v9, v5
	v_cndmask_b32_e64 v19, 0, -1, vcc_lo
	v_cmp_ge_u32_e32 vcc_lo, v12, v5
	v_cndmask_b32_e64 v20, 0, -1, vcc_lo
	v_cmp_ge_u32_e32 vcc_lo, v8, v17
	;; [unrolled: 2-line block ×3, first 2 shown]
	v_cndmask_b32_e64 v17, 0, -1, vcc_lo
	v_cmp_eq_u32_e32 vcc_lo, v12, v5
	s_delay_alu instid0(VALU_DEP_2) | instskip(SKIP_3) | instid1(VALU_DEP_3)
	v_cndmask_b32_e64 v5, v17, v8, s0
	v_cndmask_b32_e32 v12, v20, v19, vcc_lo
	v_add_co_u32 v19, vcc_lo, v10, 1
	v_add_co_ci_u32_e32 v20, vcc_lo, 0, v11, vcc_lo
	v_cmp_ne_u32_e32 vcc_lo, 0, v12
	s_delay_alu instid0(VALU_DEP_2) | instskip(SKIP_2) | instid1(VALU_DEP_3)
	v_dual_cndmask_b32 v8, v20, v14 :: v_dual_cndmask_b32 v9, v19, v13
	v_cmp_ne_u32_e32 vcc_lo, 0, v5
	v_xor_b32_e32 v5, v18, v15
	v_dual_cndmask_b32 v9, v10, v9 :: v_dual_cndmask_b32 v8, v11, v8
	v_xor_b32_e32 v10, v18, v16
	s_delay_alu instid0(VALU_DEP_2) | instskip(NEXT) | instid1(VALU_DEP_2)
	v_xor_b32_e32 v9, v9, v5
	v_xor_b32_e32 v8, v8, v10
	s_delay_alu instid0(VALU_DEP_2) | instskip(NEXT) | instid1(VALU_DEP_2)
	v_sub_co_u32 v50, vcc_lo, v9, v5
	v_sub_co_ci_u32_e32 v51, vcc_lo, v8, v10, vcc_lo
.LBB2_15:
	s_and_not1_saveexec_b32 s0, s1
	s_cbranch_execz .LBB2_17
; %bb.16:
	v_cvt_f32_u32_e32 v5, v36
	v_sub_nc_u32_e32 v8, 0, v36
	v_mov_b32_e32 v51, 0
	s_delay_alu instid0(VALU_DEP_3) | instskip(SKIP_2) | instid1(VALU_DEP_1)
	v_rcp_iflag_f32_e32 v5, v5
	s_waitcnt_depctr 0xfff
	v_mul_f32_e32 v5, 0x4f7ffffe, v5
	v_cvt_u32_f32_e32 v5, v5
	s_delay_alu instid0(VALU_DEP_1) | instskip(NEXT) | instid1(VALU_DEP_1)
	v_mul_lo_u32 v8, v8, v5
	v_mul_hi_u32 v8, v5, v8
	s_delay_alu instid0(VALU_DEP_1) | instskip(NEXT) | instid1(VALU_DEP_1)
	v_add_nc_u32_e32 v5, v5, v8
	v_mul_hi_u32 v5, v28, v5
	s_delay_alu instid0(VALU_DEP_1) | instskip(SKIP_1) | instid1(VALU_DEP_2)
	v_mul_lo_u32 v8, v5, v36
	v_add_nc_u32_e32 v9, 1, v5
	v_sub_nc_u32_e32 v8, v28, v8
	s_delay_alu instid0(VALU_DEP_1) | instskip(SKIP_1) | instid1(VALU_DEP_2)
	v_sub_nc_u32_e32 v10, v8, v36
	v_cmp_ge_u32_e32 vcc_lo, v8, v36
	v_dual_cndmask_b32 v8, v8, v10 :: v_dual_cndmask_b32 v5, v5, v9
	s_delay_alu instid0(VALU_DEP_1) | instskip(NEXT) | instid1(VALU_DEP_2)
	v_cmp_ge_u32_e32 vcc_lo, v8, v36
	v_add_nc_u32_e32 v9, 1, v5
	s_delay_alu instid0(VALU_DEP_1)
	v_cndmask_b32_e32 v50, v5, v9, vcc_lo
.LBB2_17:
	s_or_b32 exec_lo, exec_lo, s0
	v_mul_lo_u32 v5, v6, v4
	s_delay_alu instid0(VALU_DEP_1) | instskip(NEXT) | instid1(VALU_DEP_1)
	v_sub_nc_u32_e32 v5, v35, v5
	v_sub_nc_u32_e32 v8, v5, v4
	v_cmp_ge_u32_e64 s0, v5, v4
	s_delay_alu instid0(VALU_DEP_1) | instskip(NEXT) | instid1(VALU_DEP_1)
	v_cndmask_b32_e64 v5, v5, v8, s0
	v_cmp_ge_u32_e32 vcc_lo, v5, v4
	s_cbranch_execnz .LBB2_706
; %bb.18:
	ds_load_b64 v[4:5], v0
	s_mov_b32 s3, exec_lo
	s_waitcnt lgkmcnt(0)
	v_cmp_ne_u32_e64 s1, -1, v4
	s_delay_alu instid0(VALU_DEP_1) | instskip(SKIP_1) | instid1(VALU_DEP_1)
	v_cndmask_b32_e64 v54, 0, 1, s1
	v_cmp_ne_u32_e64 s1, -1, v5
	v_add_co_ci_u32_e64 v4, s2, 0, v54, s1
	s_delay_alu instid0(VALU_DEP_1) | instskip(NEXT) | instid1(VALU_DEP_1)
	v_lshlrev_b32_e32 v5, 1, v4
	v_cmpx_le_i32_e64 v5, v1
	s_xor_b32 s16, exec_lo, s3
	s_cbranch_execz .LBB2_854
; %bb.19:
	flat_load_b128 v[8:11], v[2:3] offset:16
	s_cbranch_execnz .LBB2_708
; %bb.20:
	s_load_b32 s2, s[8:9], 0x0
	v_dual_mov_b32 v5, 0 :: v_dual_mov_b32 v98, 4
	s_waitcnt lgkmcnt(0)
	s_cmp_lt_u32 s12, s2
	s_cselect_b32 s2, 12, 18
	s_delay_alu instid0(SALU_CYCLE_1)
	s_add_u32 s2, s8, s2
	s_addc_u32 s3, s9, 0
	global_load_u16 v37, v5, s[2:3]
	ds_load_b32 v5, v0
	s_mov_b32 s3, exec_lo
	s_waitcnt lgkmcnt(0)
	v_readfirstlane_b32 s5, v5
	v_cmpx_ge_i32_e64 v0, v54
	s_cbranch_execz .LBB2_30
; %bb.21:
	v_cmp_le_u32_e64 s2, v4, v0
                                        ; implicit-def: $vgpr98
	s_delay_alu instid0(VALU_DEP_1) | instskip(NEXT) | instid1(SALU_CYCLE_1)
	s_and_saveexec_b32 s4, s2
	s_xor_b32 s2, exec_lo, s4
	s_cbranch_execz .LBB2_27
; %bb.22:
	v_cndmask_b32_e64 v5, 0, 1, s1
                                        ; implicit-def: $sgpr6
	s_delay_alu instid0(VALU_DEP_1) | instskip(NEXT) | instid1(VALU_DEP_1)
	v_sub_nc_u32_e32 v5, v1, v5
	v_cmp_ge_u32_e64 s1, v0, v5
	s_delay_alu instid0(VALU_DEP_1) | instskip(NEXT) | instid1(SALU_CYCLE_1)
	s_and_saveexec_b32 s4, s1
	s_xor_b32 s1, exec_lo, s4
; %bb.23:
	s_mov_b32 s6, 16
                                        ; implicit-def: $vgpr4
; %bb.24:
	s_or_saveexec_b32 s4, s1
	v_mov_b32_e32 v98, s6
	s_xor_b32 exec_lo, exec_lo, s4
; %bb.25:
	v_sub_nc_u32_e32 v4, v1, v4
	s_delay_alu instid0(VALU_DEP_1) | instskip(NEXT) | instid1(VALU_DEP_1)
	v_cmp_ge_i32_e64 s1, v0, v4
	v_cndmask_b32_e64 v4, 0, 1, s1
	s_delay_alu instid0(VALU_DEP_1)
	v_lshlrev_b32_e32 v98, 5, v4
; %bb.26:
	s_or_b32 exec_lo, exec_lo, s4
.LBB2_27:
	s_and_not1_saveexec_b32 s1, s2
; %bb.28:
	v_mov_b32_e32 v98, 8
; %bb.29:
	s_or_b32 exec_lo, exec_lo, s1
.LBB2_30:
	s_delay_alu instid0(SALU_CYCLE_1) | instskip(NEXT) | instid1(VALU_DEP_1)
	s_or_b32 exec_lo, exec_lo, s3
	v_dual_mov_b32 v29, -1 :: v_dual_and_b32 v4, 36, v98
	s_delay_alu instid0(VALU_DEP_1) | instskip(NEXT) | instid1(VALU_DEP_1)
	v_cmp_ne_u32_e64 s1, 0, v4
	s_and_saveexec_b32 s2, s1
	s_cbranch_execz .LBB2_33
; %bb.31:
	s_cbranch_execnz .LBB2_710
; %bb.32:
	ds_load_b32 v29, v0
.LBB2_33:
	s_or_b32 exec_lo, exec_lo, s2
	v_and_b32_e32 v4, 24, v98
	s_mov_b32 s3, exec_lo
	s_delay_alu instid0(VALU_DEP_1)
	v_cmpx_ne_u32_e32 0, v4
	s_cbranch_execz .LBB2_36
; %bb.34:
	s_cbranch_execnz .LBB2_712
; %bb.35:
	s_waitcnt lgkmcnt(0)
	ds_load_b32 v29, v0
.LBB2_36:
	s_or_b32 exec_lo, exec_lo, s3
	v_mov_b32_e32 v14, 0
	v_mov_b32_e32 v15, 0
	s_delay_alu instid0(VALU_DEP_2) | instskip(NEXT) | instid1(VALU_DEP_2)
	v_mov_b32_e32 v4, v14
                                        ; implicit-def: $vgpr12_vgpr13
                                        ; implicit-def: $vgpr99
                                        ; implicit-def: $vgpr22_vgpr23
                                        ; implicit-def: $vgpr18_vgpr19
                                        ; implicit-def: $vgpr20_vgpr21
                                        ; implicit-def: $vgpr16_vgpr17
	v_mov_b32_e32 v5, v15
	s_and_saveexec_b32 s2, s1
	s_cbranch_execz .LBB2_49
; %bb.37:
	s_cbranch_execnz .LBB2_714
; %bb.38:
	ds_load_b64 v[4:5], v0
	s_waitcnt lgkmcnt(1)
	v_ashrrev_i32_e32 v30, 31, v29
	s_mov_b32 s3, exec_lo
	s_delay_alu instid0(VALU_DEP_1) | instskip(SKIP_1) | instid1(VALU_DEP_1)
	v_lshlrev_b64 v[12:13], 3, v[29:30]
	s_waitcnt lgkmcnt(0)
	v_add_co_u32 v4, s1, v4, v12
	s_delay_alu instid0(VALU_DEP_1)
	v_add_co_ci_u32_e64 v5, s1, v5, v13, s1
                                        ; implicit-def: $vgpr12_vgpr13
	flat_load_b64 v[24:25], v[4:5]
	s_waitcnt vmcnt(0) lgkmcnt(0)
	flat_load_b32 v4, v[24:25] offset:640
	s_waitcnt vmcnt(0) lgkmcnt(0)
	v_cmpx_eq_u32_e32 1, v4
	s_cbranch_execz .LBB2_41
; %bb.39:
	flat_load_b64 v[12:13], v[24:25] offset:648
	s_waitcnt vmcnt(0) lgkmcnt(0)
	flat_load_b64 v[4:5], v[12:13]
	s_cbranch_execnz .LBB2_727
; %bb.40:
	s_waitcnt vmcnt(0) lgkmcnt(0)
	ds_store_b64 v0, v[4:5]
	flat_load_b64 v[4:5], v[12:13] offset:8
	v_or_b32_e32 v98, 0x2000, v98
	s_waitcnt vmcnt(0) lgkmcnt(0)
	ds_store_b64 v0, v[4:5]
	flat_load_b64 v[4:5], v[12:13] offset:16
	s_waitcnt vmcnt(0) lgkmcnt(0)
	ds_store_b64 v0, v[4:5]
.LBB2_41:
	s_or_b32 exec_lo, exec_lo, s3
	flat_load_b64 v[4:5], v[24:25] offset:608
	v_and_b32_e32 v14, 32, v98
	s_mov_b32 s3, exec_lo
                                        ; implicit-def: $vgpr16_vgpr17
	s_waitcnt vmcnt(0) lgkmcnt(0)
	v_add_co_u32 v4, s1, v4, 3
	s_delay_alu instid0(VALU_DEP_1) | instskip(NEXT) | instid1(VALU_DEP_2)
	v_add_co_ci_u32_e64 v19, s1, 0, v5, s1
	v_and_b32_e32 v18, -4, v4
	v_cmpx_ne_u32_e32 0, v14
	s_cbranch_execz .LBB2_43
; %bb.42:
	flat_load_b64 v[16:17], v[24:25] offset:560
	s_waitcnt vmcnt(0) lgkmcnt(0)
	s_waitcnt_vscnt null, 0x0
	flat_store_b64 v[16:17], v[18:19]
.LBB2_43:
	s_or_b32 exec_lo, exec_lo, s3
	v_and_b32_e32 v20, 4, v98
	v_add_co_u32 v14, s1, 0x1f8, v24
	s_delay_alu instid0(VALU_DEP_1) | instskip(SKIP_3) | instid1(VALU_DEP_1)
	v_add_co_ci_u32_e64 v15, s1, 0, v25, s1
	v_mov_b32_e32 v4, 0
	v_mov_b32_e32 v5, 0
	v_cmp_ne_u32_e64 s1, 0, v20
                                        ; implicit-def: $vgpr99
                                        ; implicit-def: $vgpr22_vgpr23
                                        ; implicit-def: $vgpr20_vgpr21
	s_and_saveexec_b32 s3, s1
	s_cbranch_execz .LBB2_48
; %bb.44:
	v_and_b32_e32 v4, 0x800, v98
	s_mov_b32 s4, exec_lo
	s_delay_alu instid0(VALU_DEP_1)
	v_cmpx_eq_u32_e32 0, v4
	s_cbranch_execz .LBB2_47
; %bb.45:
	s_cbranch_execnz .LBB2_729
; %bb.46:
	ds_store_b64 v0, v[14:15]
.LBB2_47:
	s_or_b32 exec_lo, exec_lo, s4
	flat_load_b64 v[16:17], v[24:25] offset:552
	s_waitcnt vmcnt(0) lgkmcnt(0)
	flat_load_b64 v[22:23], v[16:17] glc
	s_clause 0x2
	flat_load_b64 v[4:5], v[24:25] offset:600
	flat_load_b32 v99, v[24:25] offset:576
	flat_load_b64 v[20:21], v[24:25] offset:520
	v_or_b32_e32 v24, 0x100, v98
	s_waitcnt vmcnt(2) lgkmcnt(2)
	v_cmp_eq_u64_e64 s1, 0, v[4:5]
	s_delay_alu instid0(VALU_DEP_1)
	v_cndmask_b32_e64 v98, v24, v98, s1
.LBB2_48:
	s_or_b32 exec_lo, exec_lo, s3
.LBB2_49:
	s_delay_alu instid0(SALU_CYCLE_1) | instskip(SKIP_3) | instid1(VALU_DEP_3)
	s_or_b32 exec_lo, exec_lo, s2
	v_add_nc_u32_e32 v24, 1, v6
	v_cvt_f32_u32_e32 v25, v34
	v_ashrrev_i32_e32 v38, 31, v26
	v_cndmask_b32_e64 v6, v6, v24, s0
	s_delay_alu instid0(VALU_DEP_3) | instskip(SKIP_2) | instid1(VALU_DEP_2)
	v_rcp_iflag_f32_e32 v24, v25
	v_bfe_i32 v25, v34, 30, 1
	s_mov_b32 s0, exec_lo
	v_add_nc_u32_e32 v30, 1, v6
	s_delay_alu instid0(VALU_DEP_2) | instskip(NEXT) | instid1(VALU_DEP_2)
	v_xor_b32_e32 v25, v38, v25
	v_cndmask_b32_e32 v6, v6, v30, vcc_lo
	s_waitcnt_depctr 0xfff
	v_mul_f32_e32 v24, 0x4f7ffffe, v24
	v_sub_nc_u32_e32 v30, 0, v34
	v_xor_b32_e32 v6, v6, v25
	s_delay_alu instid0(VALU_DEP_3) | instskip(NEXT) | instid1(VALU_DEP_2)
	v_cvt_u32_f32_e32 v24, v24
	v_sub_nc_u32_e32 v39, v6, v25
	s_delay_alu instid0(VALU_DEP_2) | instskip(NEXT) | instid1(VALU_DEP_2)
	v_mul_lo_u32 v6, v30, v24
	v_mul_lo_u32 v7, v39, v7
	s_delay_alu instid0(VALU_DEP_2) | instskip(NEXT) | instid1(VALU_DEP_2)
	v_mul_hi_u32 v6, v24, v6
	v_sub_nc_u32_e32 v7, v26, v7
	s_delay_alu instid0(VALU_DEP_2) | instskip(NEXT) | instid1(VALU_DEP_2)
	v_add_nc_u32_e32 v6, v24, v6
	v_sub_nc_u32_e32 v25, 0, v7
	s_delay_alu instid0(VALU_DEP_2) | instskip(NEXT) | instid1(VALU_DEP_2)
	v_mad_u64_u32 v[32:33], null, v35, v6, 0
	v_max_i32_e32 v48, v7, v25
	v_ashrrev_i32_e32 v32, 31, v7
	s_delay_alu instid0(VALU_DEP_2) | instskip(SKIP_1) | instid1(VALU_DEP_1)
	v_mad_u64_u32 v[25:26], null, v48, v6, 0
	v_and_b32_e32 v6, 24, v98
                                        ; implicit-def: $vgpr24_vgpr25
	v_cmpx_ne_u32_e32 0, v6
	s_cbranch_execz .LBB2_59
; %bb.50:
	s_cbranch_execnz .LBB2_721
; %bb.51:
	ds_load_b64 v[4:5], v0
	s_waitcnt lgkmcnt(1)
	v_ashrrev_i32_e32 v30, 31, v29
	v_or_b32_e32 v18, 0x100, v98
	s_mov_b32 s1, exec_lo
                                        ; implicit-def: $vgpr24_vgpr25
	s_delay_alu instid0(VALU_DEP_2) | instskip(SKIP_1) | instid1(VALU_DEP_1)
	v_lshlrev_b64 v[6:7], 3, v[29:30]
	s_waitcnt lgkmcnt(0)
	v_add_co_u32 v4, vcc_lo, v4, v6
	s_delay_alu instid0(VALU_DEP_2)
	v_add_co_ci_u32_e32 v5, vcc_lo, v5, v7, vcc_lo
	flat_load_b64 v[14:15], v[4:5]
	s_waitcnt vmcnt(0) lgkmcnt(0)
	flat_load_b128 v[4:7], v[14:15] offset:96
	s_waitcnt vmcnt(0) lgkmcnt(0)
	v_cmp_eq_u64_e32 vcc_lo, 0, v[4:5]
	v_cndmask_b32_e32 v98, v18, v98, vcc_lo
	s_delay_alu instid0(VALU_DEP_1) | instskip(NEXT) | instid1(VALU_DEP_1)
	v_and_b32_e32 v18, 16, v98
	v_cmpx_ne_u32_e32 0, v18
; %bb.52:
	s_clause 0x2
	flat_load_b64 v[24:25], v[14:15] offset:120
	flat_load_b64 v[16:17], v[14:15] offset:48
	;; [unrolled: 1-line block ×3, first 2 shown]
; %bb.53:
	s_or_b32 exec_lo, exec_lo, s1
	v_and_b32_e32 v18, 8, v98
	s_mov_b32 s1, exec_lo
	s_delay_alu instid0(VALU_DEP_1)
	v_cmpx_ne_u32_e32 0, v18
	s_cbranch_execz .LBB2_58
; %bb.54:
	s_waitcnt vmcnt(1) lgkmcnt(1)
	v_and_b32_e32 v16, 0x800, v98
	s_mov_b32 s2, exec_lo
	s_delay_alu instid0(VALU_DEP_1)
	v_cmpx_eq_u32_e32 0, v16
	s_cbranch_execz .LBB2_57
; %bb.55:
	s_cbranch_execnz .LBB2_731
; %bb.56:
	ds_store_b64 v0, v[14:15]
.LBB2_57:
	s_or_b32 exec_lo, exec_lo, s2
	flat_load_b64 v[16:17], v[14:15] offset:56
	s_waitcnt vmcnt(0) lgkmcnt(0)
	flat_load_b64 v[22:23], v[16:17] glc
	s_clause 0x1
	flat_load_b32 v99, v[14:15] offset:72
	flat_load_b64 v[20:21], v[14:15] offset:16
.LBB2_58:
	s_or_b32 exec_lo, exec_lo, s1
	v_add_co_u32 v6, vcc_lo, v6, 3
	v_add_co_ci_u32_e32 v19, vcc_lo, 0, v7, vcc_lo
	s_delay_alu instid0(VALU_DEP_2)
	v_and_b32_e32 v18, -4, v6
.LBB2_59:
	s_or_b32 exec_lo, exec_lo, s0
	v_cmp_eq_u32_e64 s0, 0, v0
	s_delay_alu instid0(VALU_DEP_1)
	s_and_saveexec_b32 s1, s0
	s_cbranch_execz .LBB2_62
; %bb.60:
	s_waitcnt vmcnt(1)
	v_dual_mov_b32 v6, v10 :: v_dual_mov_b32 v7, v11
	ds_store_2addr_b64 v0, v[6:7], v[8:9] offset1:1
	s_cbranch_execnz .LBB2_723
; %bb.61:
	v_mov_b32_e32 v6, 0
	s_delay_alu instid0(VALU_DEP_1)
	v_mov_b32_e32 v7, v6
	ds_store_b64 v0, v[6:7]
.LBB2_62:
	s_or_b32 exec_lo, exec_lo, s1
	s_waitcnt vmcnt(1)
	v_mov_b32_e32 v10, 0
	s_waitcnt vmcnt(0)
	v_dual_mov_b32 v11, 0 :: v_dual_and_b32 v30, 0xffff, v37
	s_cmp_lt_i32 s13, -1
	s_cbranch_scc1 .LBB2_716
; %bb.63:
	v_mul_lo_u32 v6, v33, v34
	v_mul_lo_u32 v7, v26, v34
	v_ashrrev_i32_e32 v9, 31, v0
	s_mov_b32 s15, 0
	s_delay_alu instid0(VALU_DEP_1) | instskip(NEXT) | instid1(VALU_DEP_4)
	v_lshrrev_b32_e32 v9, 27, v9
	v_sub_nc_u32_e32 v6, v35, v6
	s_delay_alu instid0(VALU_DEP_4) | instskip(SKIP_1) | instid1(VALU_DEP_4)
	v_sub_nc_u32_e32 v7, v48, v7
	v_mad_u64_u32 v[48:49], null, v50, v36, 0
	v_add_nc_u32_e32 v9, v0, v9
	s_delay_alu instid0(VALU_DEP_4) | instskip(SKIP_2) | instid1(VALU_DEP_3)
	v_sub_nc_u32_e32 v8, v6, v34
	v_cmp_ge_u32_e32 vcc_lo, v6, v34
	v_sub_nc_u32_e32 v10, v7, v34
	v_cndmask_b32_e32 v6, v6, v8, vcc_lo
	v_cmp_ge_u32_e32 vcc_lo, v7, v34
	v_add_nc_u32_e32 v8, 1, v26
	s_delay_alu instid0(VALU_DEP_4) | instskip(NEXT) | instid1(VALU_DEP_4)
	v_cndmask_b32_e32 v7, v7, v10, vcc_lo
	v_sub_nc_u32_e32 v11, v6, v34
	v_cmp_ge_u32_e64 s1, v6, v34
	s_delay_alu instid0(VALU_DEP_4) | instskip(SKIP_2) | instid1(VALU_DEP_4)
	v_cndmask_b32_e32 v8, v26, v8, vcc_lo
	v_mov_b32_e32 v26, 0
	v_cmp_ge_u32_e32 vcc_lo, v7, v34
	v_cndmask_b32_e64 v6, v6, v11, s1
	s_delay_alu instid0(VALU_DEP_4) | instskip(NEXT) | instid1(VALU_DEP_2)
	v_add_nc_u32_e32 v10, 1, v8
	v_xor_b32_e32 v6, v6, v38
	s_delay_alu instid0(VALU_DEP_2) | instskip(SKIP_1) | instid1(VALU_DEP_3)
	v_dual_cndmask_b32 v7, v8, v10 :: v_dual_and_b32 v10, 0xffffffe0, v9
	v_cmp_ge_i32_e32 vcc_lo, v0, v1
	v_sub_nc_u32_e32 v8, v6, v38
	s_delay_alu instid0(VALU_DEP_3) | instskip(NEXT) | instid1(VALU_DEP_4)
	v_xor_b32_e32 v11, v7, v32
	v_sub_nc_u32_e32 v100, v0, v10
	s_delay_alu instid0(VALU_DEP_3) | instskip(NEXT) | instid1(VALU_DEP_3)
	v_mad_u64_u32 v[6:7], null, v39, v34, v[8:9]
	v_sub_nc_u32_e32 v10, v11, v32
	v_sub_co_u32 v8, null, v28, v48
	v_and_b32_e32 v7, 31, v31
	v_cmp_gt_i32_e64 s1, 1, v100
	s_delay_alu instid0(VALU_DEP_4) | instskip(NEXT) | instid1(VALU_DEP_4)
	v_cmp_eq_u32_e64 s11, 0, v10
	v_cmp_lt_i32_e64 s3, v6, v8
	s_delay_alu instid0(VALU_DEP_4)
	v_cmp_eq_u32_e64 s2, 0, v7
	s_cbranch_execnz .LBB2_725
; %bb.64:
	s_delay_alu instid0(VALU_DEP_2)
	v_cndmask_b32_e64 v7, 0, 1, s3
	v_min_i32_e32 v32, v6, v8
	v_lshrrev_b32_e32 v101, 5, v1
	s_abs_i32 s18, s13
	v_and_b32_e32 v117, 0xffffffe0, v1
	v_add_co_u32 v11, s3, v50, v7
	s_delay_alu instid0(VALU_DEP_1) | instskip(SKIP_1) | instid1(VALU_DEP_3)
	v_add_co_ci_u32_e64 v28, s3, 0, v51, s3
	v_ashrrev_i32_e32 v7, 31, v6
	v_mul_lo_u32 v37, v11, v53
	v_ashrrev_i32_e32 v33, 31, v32
	s_delay_alu instid0(VALU_DEP_4)
	v_mul_lo_u32 v36, v28, v52
	s_waitcnt lgkmcnt(0)
	v_mad_u64_u32 v[28:29], null, v11, v52, 0
	v_ashrrev_i32_e32 v11, 31, v10
	v_mul_lo_u32 v51, v51, v6
	v_mul_lo_u32 v55, v50, v7
	v_mad_u64_u32 v[34:35], null, v50, v6, v[32:33]
	s_lshr_b32 s3, s13, 31
	v_add3_u32 v29, v29, v37, v36
	v_mul_lo_u32 v11, v28, v11
	v_mad_u64_u32 v[36:37], null, v28, v10, 0
	s_add_i32 s4, s13, s3
	s_delay_alu instid0(VALU_DEP_3) | instskip(SKIP_4) | instid1(VALU_DEP_4)
	v_mul_lo_u32 v10, v29, v10
	v_add3_u32 v35, v51, v35, v55
	v_mul_lo_u32 v38, v34, v53
	v_mad_u64_u32 v[32:33], null, v34, v52, 0
	v_and_b32_e32 v34, 0x3ffffe00, v27
	v_mul_lo_u32 v39, v35, v52
	v_mov_b32_e32 v35, v26
	v_add3_u32 v11, v37, v11, v10
	v_lshrrev_b32_e32 v27, 31, v29
	v_lshlrev_b32_e32 v102, 9, v101
	v_cvt_f32_u32_e32 v68, s18
	v_lshl_add_u32 v67, v101, 8, 0xffffff00
	v_lshrrev_b32_e32 v10, 31, v11
	v_add3_u32 v33, v33, v38, v39
	s_ashr_i32 s17, s4, 1
	v_rcp_iflag_f32_e32 v68, v68
	v_add_co_u32 v115, s4, 0x100, v67
	v_add_co_u32 v10, s3, v36, v10
	s_delay_alu instid0(VALU_DEP_1) | instskip(SKIP_1) | instid1(VALU_DEP_1)
	v_add_co_ci_u32_e64 v11, s3, 0, v11, s3
	v_add_co_u32 v37, s3, v28, v27
	v_add_co_ci_u32_e64 v38, s3, 0, v29, s3
	v_ashrrev_i32_e32 v36, 5, v9
	v_dual_mov_b32 v130, 1 :: v_dual_lshlrev_b32 v9, 4, v100
	s_delay_alu instid0(VALU_DEP_3) | instskip(SKIP_2) | instid1(VALU_DEP_4)
	v_ashrrev_i64 v[64:65], 1, v[37:38]
	v_ashrrev_i64 v[38:39], 1, v[10:11]
	v_add_nc_u32_e32 v11, 0xfffffe00, v102
	v_lshl_add_u32 v48, v36, 10, v9
	v_lshl_add_u32 v9, v101, 10, 0xfffffc00
	s_sub_i32 s14, 0, s18
	v_sub_co_u32 v27, s3, v28, v64
	s_delay_alu instid0(VALU_DEP_1) | instskip(NEXT) | instid1(VALU_DEP_3)
	v_sub_co_ci_u32_e64 v66, s3, v29, v65, s3
	v_ashrrev_i32_e32 v10, 31, v9
	v_add_co_u32 v103, s3, 0x400, v9
	v_ashrrev_i32_e32 v9, 31, v8
	v_cmp_eq_u64_e64 s7, 0, v[24:25]
	s_delay_alu instid0(VALU_DEP_4) | instskip(SKIP_4) | instid1(VALU_DEP_4)
	v_add_co_ci_u32_e64 v112, s3, 0, v10, s3
	v_ashrrev_i32_e32 v10, 31, v11
	v_add_co_u32 v113, s3, 0x200, v11
	v_cmp_ne_u64_e64 s10, 0, v[24:25]
	v_ashrrev_i32_e32 v37, 31, v36
	v_add_co_ci_u32_e64 v114, s3, 0, v10, s3
	v_cmp_lt_i64_e64 s3, v[6:7], v[8:9]
	v_ashrrev_i32_e32 v10, 31, v67
	v_ashrrev_i32_e32 v49, 31, v48
	;; [unrolled: 1-line block ×4, first 2 shown]
	v_cmp_lt_i32_e64 s6, v100, v54
	v_cndmask_b32_e64 v9, v9, v7, s3
	v_cndmask_b32_e64 v8, v8, v6, s3
	v_add_co_ci_u32_e64 v116, s4, 0, v10, s4
	s_ashr_i32 s4, s5, 31
	v_cndmask_b32_e64 v128, v66, v65, s11
	s_delay_alu instid0(VALU_DEP_3)
	v_mad_u64_u32 v[10:11], null, v50, v6, v[8:9]
	v_mul_f32_e32 v6, 0x4f7ffffe, v68
	s_lshr_b32 s3, s4, 25
	v_cmp_ne_u32_e64 s4, 32, v1
	s_add_i32 s5, s5, s3
	v_cmp_eq_u32_e64 s3, 32, v1
	v_cvt_u32_f32_e32 v6, v6
	v_add3_u32 v7, v51, v11, v55
	v_mad_u64_u32 v[50:51], null, v10, v52, 0
	s_ashr_i32 s19, s5, 7
	s_delay_alu instid0(VALU_DEP_3)
	v_readfirstlane_b32 s12, v6
	v_mul_lo_u32 v6, v10, v53
	v_mul_lo_u32 v7, v7, v52
	v_mov_b32_e32 v10, 0
	v_cmp_ne_u32_e64 s5, v30, v1
	s_mul_i32 s14, s14, s12
	v_cndmask_b32_e64 v129, v27, v64, s11
	v_mov_b32_e32 v11, 0
	s_mul_hi_u32 s11, s12, s14
	s_xor_b32 s21, vcc_lo, -1
	v_add3_u32 v51, v51, v6, v7
	s_add_i32 s20, s12, s11
	s_mov_b32 s14, s15
	s_cbranch_execnz .LBB2_702
.LBB2_65:                               ; =>This Loop Header: Depth=1
                                        ;     Child Loop BB2_73 Depth 2
                                        ;     Child Loop BB2_80 Depth 2
	;; [unrolled: 1-line block ×5, first 2 shown]
                                        ;       Child Loop BB2_103 Depth 3
                                        ;         Child Loop BB2_112 Depth 4
                                        ;         Child Loop BB2_139 Depth 4
	;; [unrolled: 1-line block ×8, first 2 shown]
                                        ;       Child Loop BB2_242 Depth 3
                                        ;         Child Loop BB2_248 Depth 4
                                        ;         Child Loop BB2_275 Depth 4
                                        ;       Child Loop BB2_299 Depth 3
                                        ;         Child Loop BB2_301 Depth 4
                                        ;           Child Loop BB2_309 Depth 5
                                        ;           Child Loop BB2_341 Depth 5
	;; [unrolled: 1-line block ×8, first 2 shown]
                                        ;         Child Loop BB2_444 Depth 4
                                        ;           Child Loop BB2_450 Depth 5
                                        ;           Child Loop BB2_482 Depth 5
                                        ;       Child Loop BB2_507 Depth 3
                                        ;         Child Loop BB2_516 Depth 4
                                        ;         Child Loop BB2_543 Depth 4
	;; [unrolled: 1-line block ×8, first 2 shown]
                                        ;       Child Loop BB2_644 Depth 3
                                        ;         Child Loop BB2_650 Depth 4
                                        ;         Child Loop BB2_677 Depth 4
	s_sub_i32 s11, s13, s14
	ds_load_b64 v[6:7], v0
	s_abs_i32 s12, s11
	s_ashr_i32 s11, s11, 31
	s_mul_hi_u32 s22, s12, s20
	s_delay_alu instid0(SALU_CYCLE_1) | instskip(NEXT) | instid1(SALU_CYCLE_1)
	s_mul_i32 s22, s22, s18
	s_sub_i32 s12, s12, s22
	s_delay_alu instid0(SALU_CYCLE_1) | instskip(SKIP_2) | instid1(SALU_CYCLE_1)
	s_sub_i32 s22, s12, s18
	s_cmp_ge_u32 s12, s18
	s_cselect_b32 s12, s22, s12
	s_sub_i32 s22, s12, s18
	s_cmp_ge_u32 s12, s18
	s_cselect_b32 s12, s22, s12
	s_lshl_b64 s[24:25], s[14:15], 2
	s_xor_b32 s12, s12, s11
	s_waitcnt lgkmcnt(0)
	v_add_co_u32 v8, vcc_lo, v6, s24
	s_sub_i32 s22, s12, s11
	v_add_co_ci_u32_e32 v9, vcc_lo, s25, v7, vcc_lo
	s_ashr_i32 s23, s22, 31
	s_delay_alu instid0(SALU_CYCLE_1)
	s_lshl_b64 s[22:23], s[22:23], 2
	s_cmp_lg_u32 s14, 0
	v_add_co_u32 v6, vcc_lo, v6, s22
	v_add_co_ci_u32_e32 v7, vcc_lo, s23, v7, vcc_lo
	s_clause 0x1
	flat_load_b32 v8, v[8:9]
	flat_load_b32 v6, v[6:7]
	s_cselect_b32 s11, -1, 0
	s_waitcnt vmcnt(1) lgkmcnt(1)
	v_ashrrev_i32_e32 v7, 31, v8
	s_waitcnt vmcnt(0) lgkmcnt(0)
	v_ashrrev_i32_e32 v27, 31, v6
	v_mul_lo_u32 v9, v97, v8
	v_mad_u64_u32 v[64:65], null, v96, v8, 0
	v_mul_lo_u32 v7, v96, v7
	v_mul_lo_u32 v66, v97, v6
	v_mad_u64_u32 v[54:55], null, v96, v6, 0
	v_cmp_eq_u32_e32 vcc_lo, v6, v8
	v_mul_lo_u32 v6, v96, v27
	v_add3_u32 v65, v65, v7, v9
	v_dual_cndmask_b32 v27, 0, v39 :: v_dual_cndmask_b32 v52, v28, v129
	v_cndmask_b32_e32 v135, 0, v38, vcc_lo
	v_cndmask_b32_e32 v53, v29, v128, vcc_lo
	v_add3_u32 v55, v55, v6, v66
	v_add_co_u32 v6, vcc_lo, v64, v32
	v_add_co_ci_u32_e32 v7, vcc_lo, v65, v33, vcc_lo
	v_add_co_u32 v8, vcc_lo, v54, v32
	s_delay_alu instid0(VALU_DEP_4) | instskip(NEXT) | instid1(VALU_DEP_4)
	v_add_co_ci_u32_e32 v9, vcc_lo, v55, v33, vcc_lo
	v_add_co_u32 v131, vcc_lo, v6, v135
	s_delay_alu instid0(VALU_DEP_4) | instskip(NEXT) | instid1(VALU_DEP_4)
	v_add_co_ci_u32_e32 v132, vcc_lo, v7, v27, vcc_lo
	v_add_co_u32 v133, vcc_lo, v8, v135
	s_delay_alu instid0(VALU_DEP_4)
	v_add_co_ci_u32_e32 v134, vcc_lo, v9, v27, vcc_lo
	s_and_b32 vcc_lo, exec_lo, s11
	s_cbranch_vccnz .LBB2_98
; %bb.66:                               ;   in Loop: Header=BB2_65 Depth=1
	flat_load_b128 v[6:9], v[2:3] offset:16
	s_mov_b32 s11, -1
	s_mov_b32 s12, exec_lo
	s_waitcnt vmcnt(0) lgkmcnt(0)
	v_cmpx_ne_u64_e64 v[8:9], v[6:7]
	s_cbranch_execz .LBB2_97
; %bb.67:                               ;   in Loop: Header=BB2_65 Depth=1
	s_mov_b32 s23, -1
	s_and_saveexec_b32 s22, s1
; %bb.68:                               ;   in Loop: Header=BB2_65 Depth=1
	v_add_nc_u32_e32 v66, v8, v131
	v_add_nc_u32_e32 v67, v6, v133
	s_delay_alu instid0(VALU_DEP_1) | instskip(NEXT) | instid1(VALU_DEP_1)
	v_or_b32_e32 v66, v66, v67
	v_and_b32_e32 v66, 15, v66
	s_delay_alu instid0(VALU_DEP_1)
	v_cmp_eq_u32_e32 vcc_lo, 0, v66
	s_or_not1_b32 s23, vcc_lo, exec_lo
; %bb.69:                               ;   in Loop: Header=BB2_65 Depth=1
	s_or_b32 exec_lo, exec_lo, s22
	s_xor_b32 s22, s23, -1
	s_delay_alu instid0(SALU_CYCLE_1) | instskip(SKIP_1) | instid1(VALU_DEP_1)
	v_cndmask_b32_e64 v66, 0, 1, s22
	;;#ASMSTART
	;;#ASMEND
	v_cmp_ne_u32_e32 vcc_lo, 0, v66
	s_cbranch_vccz .LBB2_71
; %bb.70:                               ;   in Loop: Header=BB2_65 Depth=1
	v_dual_mov_b32 v68, 0 :: v_dual_mov_b32 v67, v53
	v_dual_mov_b32 v144, v0 :: v_dual_mov_b32 v87, v37
	;; [unrolled: 1-line block ×3, first 2 shown]
	v_mov_b32_e32 v81, v36
	v_mov_b32_e32 v86, v36
	s_branch .LBB2_86
.LBB2_71:                               ;   in Loop: Header=BB2_65 Depth=1
	v_ashrrev_i32_e32 v66, 31, v53
	s_mov_b32 s22, exec_lo
	s_delay_alu instid0(VALU_DEP_1) | instskip(NEXT) | instid1(VALU_DEP_1)
	v_lshrrev_b32_e32 v66, 22, v66
	v_add_co_u32 v66, vcc_lo, v52, v66
	v_add_co_ci_u32_e32 v67, vcc_lo, 0, v53, vcc_lo
	s_delay_alu instid0(VALU_DEP_1) | instskip(NEXT) | instid1(VALU_DEP_1)
	v_ashrrev_i64 v[66:67], 10, v[66:67]
	v_sub_co_u32 v80, vcc_lo, v66, v36
	s_delay_alu instid0(VALU_DEP_2) | instskip(NEXT) | instid1(VALU_DEP_1)
	v_sub_co_ci_u32_e32 v81, vcc_lo, v67, v37, vcc_lo
	v_cmpx_lt_i64_e32 0, v[80:81]
	s_cbranch_execz .LBB2_75
; %bb.72:                               ;   in Loop: Header=BB2_65 Depth=1
	v_add_co_u32 v68, vcc_lo, v50, v135
	v_add_co_ci_u32_e32 v69, vcc_lo, v51, v27, vcc_lo
	s_mov_b32 s23, 0
	s_delay_alu instid0(VALU_DEP_2) | instskip(NEXT) | instid1(VALU_DEP_2)
	v_add_co_u32 v70, vcc_lo, v68, v8
	v_add_co_ci_u32_e32 v71, vcc_lo, v69, v9, vcc_lo
	v_add_co_u32 v82, vcc_lo, v68, v6
	v_add_co_ci_u32_e32 v83, vcc_lo, v69, v7, vcc_lo
	s_delay_alu instid0(VALU_DEP_4) | instskip(NEXT) | instid1(VALU_DEP_4)
	v_add_co_u32 v68, vcc_lo, v70, v64
	v_add_co_ci_u32_e32 v69, vcc_lo, v71, v65, vcc_lo
	s_delay_alu instid0(VALU_DEP_4) | instskip(NEXT) | instid1(VALU_DEP_4)
	v_add_co_u32 v70, vcc_lo, v82, v54
	v_add_co_ci_u32_e32 v71, vcc_lo, v83, v55, vcc_lo
.LBB2_73:                               ;   Parent Loop BB2_65 Depth=1
                                        ; =>  This Inner Loop Header: Depth=2
	s_delay_alu instid0(VALU_DEP_4) | instskip(NEXT) | instid1(VALU_DEP_4)
	v_add_co_u32 v86, vcc_lo, v48, v68
	v_add_co_ci_u32_e32 v87, vcc_lo, v49, v69, vcc_lo
	s_clause 0x1
	global_load_b128 v[82:85], v[86:87], off slc dlc
	global_load_b128 v[144:147], v[86:87], off offset:512 slc dlc
	v_add_co_u32 v86, vcc_lo, v48, v70
	v_add_co_ci_u32_e32 v87, vcc_lo, v49, v71, vcc_lo
	v_sub_co_u32 v80, vcc_lo, v80, v101
	v_subrev_co_ci_u32_e32 v81, vcc_lo, 0, v81, vcc_lo
	v_add_co_u32 v68, vcc_lo, v68, v103
	v_add_co_ci_u32_e32 v69, vcc_lo, v69, v112, vcc_lo
	s_delay_alu instid0(VALU_DEP_3) | instskip(SKIP_1) | instid1(VALU_DEP_1)
	v_cmp_gt_i64_e32 vcc_lo, 1, v[80:81]
	v_add_co_u32 v70, s11, v70, v103
	v_add_co_ci_u32_e64 v71, s11, v71, v112, s11
	s_waitcnt vmcnt(1)
	global_store_b128 v[86:87], v[82:85], off glc slc dlc
	s_waitcnt vmcnt(0)
	global_store_b128 v[86:87], v[144:147], off offset:512 glc slc dlc
	s_or_b32 s23, vcc_lo, s23
	s_delay_alu instid0(SALU_CYCLE_1)
	s_and_not1_b32 exec_lo, exec_lo, s23
	s_cbranch_execnz .LBB2_73
; %bb.74:                               ;   in Loop: Header=BB2_65 Depth=1
	s_or_b32 exec_lo, exec_lo, s23
.LBB2_75:                               ;   in Loop: Header=BB2_65 Depth=1
	s_delay_alu instid0(SALU_CYCLE_1)
	s_or_b32 exec_lo, exec_lo, s22
	v_lshlrev_b64 v[82:83], 10, v[66:67]
	v_mov_b32_e32 v68, 0
	v_mov_b32_e32 v69, 0
	s_mov_b32 s11, 0
	s_mov_b32 s22, exec_lo
                                        ; implicit-def: $vgpr66_vgpr67
                                        ; implicit-def: $vgpr144
                                        ; implicit-def: $vgpr81
                                        ; implicit-def: $vgpr86_vgpr87
	s_delay_alu instid0(VALU_DEP_3)
	v_cmpx_ne_u64_e64 v[52:53], v[82:83]
	s_cbranch_execz .LBB2_85
; %bb.76:                               ;   in Loop: Header=BB2_65 Depth=1
	v_sub_co_u32 v68, vcc_lo, v52, v82
	v_sub_co_ci_u32_e32 v69, vcc_lo, v53, v83, vcc_lo
	s_delay_alu instid0(VALU_DEP_1) | instskip(NEXT) | instid1(VALU_DEP_1)
	v_ashrrev_i32_e32 v66, 31, v69
	v_lshrrev_b32_e32 v66, 23, v66
	s_delay_alu instid0(VALU_DEP_1) | instskip(SKIP_1) | instid1(VALU_DEP_2)
	v_add_co_u32 v70, vcc_lo, v68, v66
	v_add_co_ci_u32_e32 v71, vcc_lo, 0, v69, vcc_lo
	v_and_b32_e32 v81, 0xfffffe00, v70
	s_delay_alu instid0(VALU_DEP_2) | instskip(NEXT) | instid1(VALU_DEP_2)
	v_ashrrev_i64 v[84:85], 9, v[70:71]
	v_sub_co_u32 v66, vcc_lo, v68, v81
	v_add_co_u32 v70, s11, v81, v82
	v_sub_co_ci_u32_e32 v67, vcc_lo, v69, v71, vcc_lo
	v_add_co_ci_u32_e64 v71, s11, v71, v83, s11
	s_mov_b32 s11, exec_lo
	s_delay_alu instid0(VALU_DEP_2)
	v_cmpx_lt_i64_e32 15, v[66:67]
; %bb.77:                               ;   in Loop: Header=BB2_65 Depth=1
	v_dual_mov_b32 v87, v26 :: v_dual_and_b32 v86, 15, v52
	v_add_co_u32 v84, vcc_lo, v84, 1
	v_add_co_ci_u32_e32 v85, vcc_lo, 0, v85, vcc_lo
	s_delay_alu instid0(VALU_DEP_3) | instskip(SKIP_1) | instid1(VALU_DEP_2)
	v_sub_co_u32 v66, vcc_lo, v66, v86
	v_subrev_co_ci_u32_e32 v67, vcc_lo, 0, v67, vcc_lo
	v_add_co_u32 v70, vcc_lo, v66, v70
	s_delay_alu instid0(VALU_DEP_2)
	v_add_co_ci_u32_e32 v71, vcc_lo, v67, v71, vcc_lo
	v_dual_mov_b32 v66, v86 :: v_dual_mov_b32 v67, v87
; %bb.78:                               ;   in Loop: Header=BB2_65 Depth=1
	s_or_b32 exec_lo, exec_lo, s11
	v_lshlrev_b32_e32 v80, 5, v80
	s_mov_b32 s23, exec_lo
	s_delay_alu instid0(VALU_DEP_1) | instskip(NEXT) | instid1(VALU_DEP_1)
	v_sub_nc_u32_e32 v80, v100, v80
	v_ashrrev_i32_e32 v81, 31, v80
	s_delay_alu instid0(VALU_DEP_1) | instskip(NEXT) | instid1(VALU_DEP_1)
	v_lshrrev_b32_e32 v81, 27, v81
	v_add_nc_u32_e32 v81, v80, v81
	s_delay_alu instid0(VALU_DEP_1) | instskip(SKIP_1) | instid1(VALU_DEP_2)
	v_and_b32_e32 v86, 0xffffffe0, v81
	v_ashrrev_i32_e32 v81, 5, v81
	v_sub_nc_u32_e32 v80, v80, v86
	s_delay_alu instid0(VALU_DEP_2) | instskip(SKIP_1) | instid1(VALU_DEP_3)
	v_ashrrev_i32_e32 v144, 31, v81
	v_sub_co_u32 v84, s11, v84, v81
	v_lshlrev_b32_e32 v86, 4, v80
	s_delay_alu instid0(VALU_DEP_3) | instskip(NEXT) | instid1(VALU_DEP_2)
	v_sub_co_ci_u32_e64 v85, s11, v85, v144, s11
	v_lshl_add_u32 v86, v81, 9, v86
	s_delay_alu instid0(VALU_DEP_1) | instskip(SKIP_1) | instid1(VALU_DEP_2)
	v_ashrrev_i32_e32 v87, 31, v86
	v_sub_co_u32 v68, vcc_lo, v68, v86
	v_sub_co_ci_u32_e32 v69, vcc_lo, v69, v87, vcc_lo
	s_delay_alu instid0(VALU_DEP_1)
	v_cmpx_lt_i64_e32 15, v[68:69]
	s_cbranch_execz .LBB2_82
; %bb.79:                               ;   in Loop: Header=BB2_65 Depth=1
	v_add_co_u32 v81, vcc_lo, v32, v135
	v_add_co_ci_u32_e32 v144, vcc_lo, v33, v27, vcc_lo
	s_mov_b32 s24, 0
	s_delay_alu instid0(VALU_DEP_2) | instskip(NEXT) | instid1(VALU_DEP_2)
	v_add_co_u32 v145, vcc_lo, v81, v82
	v_add_co_ci_u32_e32 v144, vcc_lo, v144, v83, vcc_lo
	v_add_co_u32 v81, vcc_lo, v8, v64
	v_add_co_ci_u32_e32 v82, vcc_lo, v9, v65, vcc_lo
	s_delay_alu instid0(VALU_DEP_4) | instskip(NEXT) | instid1(VALU_DEP_4)
	v_add_co_u32 v83, vcc_lo, v145, v86
	v_add_co_ci_u32_e32 v86, vcc_lo, v144, v87, vcc_lo
	v_add_co_u32 v87, vcc_lo, v6, v54
	v_add_co_ci_u32_e32 v144, vcc_lo, v7, v55, vcc_lo
.LBB2_80:                               ;   Parent Loop BB2_65 Depth=1
                                        ; =>  This Inner Loop Header: Depth=2
	s_delay_alu instid0(VALU_DEP_4) | instskip(NEXT) | instid1(VALU_DEP_4)
	v_add_co_u32 v145, vcc_lo, v81, v83
	v_add_co_ci_u32_e32 v146, vcc_lo, v82, v86, vcc_lo
	s_delay_alu instid0(VALU_DEP_4) | instskip(NEXT) | instid1(VALU_DEP_4)
	v_add_co_u32 v149, vcc_lo, v87, v83
	v_add_co_ci_u32_e32 v150, vcc_lo, v144, v86, vcc_lo
	global_load_b128 v[145:148], v[145:146], off slc dlc
	v_sub_co_u32 v68, vcc_lo, v68, v102
	v_subrev_co_ci_u32_e32 v69, vcc_lo, 0, v69, vcc_lo
	v_sub_co_u32 v84, vcc_lo, v84, v101
	v_subrev_co_ci_u32_e32 v85, vcc_lo, 0, v85, vcc_lo
	s_delay_alu instid0(VALU_DEP_3) | instskip(SKIP_1) | instid1(VALU_DEP_1)
	v_cmp_gt_i64_e32 vcc_lo, 16, v[68:69]
	v_add_co_u32 v83, s11, v83, v113
	v_add_co_ci_u32_e64 v86, s11, v86, v114, s11
	s_or_b32 s24, vcc_lo, s24
	s_waitcnt vmcnt(0)
	global_store_b128 v[149:150], v[145:148], off glc slc dlc
	s_and_not1_b32 exec_lo, exec_lo, s24
	s_cbranch_execnz .LBB2_80
; %bb.81:                               ;   in Loop: Header=BB2_65 Depth=1
	s_or_b32 exec_lo, exec_lo, s24
.LBB2_82:                               ;   in Loop: Header=BB2_65 Depth=1
	s_delay_alu instid0(SALU_CYCLE_1)
	s_or_b32 exec_lo, exec_lo, s23
	v_mov_b32_e32 v68, 0
	v_mov_b32_e32 v69, 0
	s_mov_b32 s11, 0
	s_mov_b32 s23, exec_lo
                                        ; implicit-def: $vgpr144
                                        ; implicit-def: $vgpr81
                                        ; implicit-def: $vgpr86_vgpr87
	v_cmpx_ne_u64_e32 0, v[66:67]
	s_cbranch_execz .LBB2_84
; %bb.83:                               ;   in Loop: Header=BB2_65 Depth=1
	v_cmp_lt_i64_e32 vcc_lo, 0, v[84:85]
	s_mov_b32 s11, exec_lo
	v_cndmask_b32_e32 v68, 0, v101, vcc_lo
	s_delay_alu instid0(VALU_DEP_1) | instskip(NEXT) | instid1(VALU_DEP_1)
	v_sub_nc_u32_e32 v68, v68, v84
	v_lshl_add_u32 v144, v68, 5, v80
	s_delay_alu instid0(VALU_DEP_1) | instskip(NEXT) | instid1(VALU_DEP_1)
	v_ashrrev_i32_e32 v68, 31, v144
	v_lshrrev_b32_e32 v68, 27, v68
	s_delay_alu instid0(VALU_DEP_1) | instskip(NEXT) | instid1(VALU_DEP_1)
	v_add_nc_u32_e32 v68, v144, v68
	v_ashrrev_i32_e32 v81, 5, v68
	v_dual_mov_b32 v68, v70 :: v_dual_mov_b32 v69, v71
	s_delay_alu instid0(VALU_DEP_2) | instskip(NEXT) | instid1(VALU_DEP_1)
	v_ashrrev_i32_e32 v82, 31, v81
	v_dual_mov_b32 v87, v82 :: v_dual_mov_b32 v86, v81
.LBB2_84:                               ;   in Loop: Header=BB2_65 Depth=1
	s_or_b32 exec_lo, exec_lo, s23
	s_delay_alu instid0(SALU_CYCLE_1)
	s_and_b32 s11, s11, exec_lo
.LBB2_85:                               ;   in Loop: Header=BB2_65 Depth=1
	s_or_b32 exec_lo, exec_lo, s22
.LBB2_86:                               ;   in Loop: Header=BB2_65 Depth=1
	s_and_saveexec_b32 s22, s11
	s_cbranch_execz .LBB2_96
; %bb.87:                               ;   in Loop: Header=BB2_65 Depth=1
	v_ashrrev_i32_e32 v70, 31, v67
	s_mov_b32 s11, exec_lo
	s_delay_alu instid0(VALU_DEP_1) | instskip(NEXT) | instid1(VALU_DEP_1)
	v_lshrrev_b32_e32 v70, 24, v70
	v_add_co_u32 v70, vcc_lo, v66, v70
	v_add_co_ci_u32_e32 v71, vcc_lo, 0, v67, vcc_lo
	s_delay_alu instid0(VALU_DEP_1) | instskip(NEXT) | instid1(VALU_DEP_1)
	v_ashrrev_i64 v[82:83], 8, v[70:71]
	v_sub_co_u32 v70, vcc_lo, v82, v86
	s_delay_alu instid0(VALU_DEP_2) | instskip(NEXT) | instid1(VALU_DEP_1)
	v_sub_co_ci_u32_e32 v71, vcc_lo, v83, v87, vcc_lo
	v_cmpx_lt_i64_e32 0, v[70:71]
	s_cbranch_execz .LBB2_91
; %bb.88:                               ;   in Loop: Header=BB2_65 Depth=1
	v_ashrrev_i32_e32 v80, 31, v144
	v_add_co_u32 v84, vcc_lo, v32, v135
	v_add_co_ci_u32_e32 v85, vcc_lo, v33, v27, vcc_lo
	s_delay_alu instid0(VALU_DEP_3) | instskip(NEXT) | instid1(VALU_DEP_3)
	v_lshrrev_b32_e32 v80, 27, v80
	v_add_co_u32 v84, vcc_lo, v84, v68
	s_delay_alu instid0(VALU_DEP_3) | instskip(NEXT) | instid1(VALU_DEP_3)
	v_add_co_ci_u32_e32 v85, vcc_lo, v85, v69, vcc_lo
	v_add_nc_u32_e32 v80, v144, v80
	s_delay_alu instid0(VALU_DEP_3) | instskip(NEXT) | instid1(VALU_DEP_3)
	v_add_co_u32 v86, vcc_lo, v84, v8
	v_add_co_ci_u32_e32 v87, vcc_lo, v85, v9, vcc_lo
	s_delay_alu instid0(VALU_DEP_3) | instskip(SKIP_2) | instid1(VALU_DEP_3)
	v_and_b32_e32 v80, 0xffffffe0, v80
	v_add_co_u32 v145, vcc_lo, v84, v6
	v_add_co_ci_u32_e32 v146, vcc_lo, v85, v7, vcc_lo
	v_sub_nc_u32_e32 v80, v144, v80
	s_mov_b32 s23, 0
	s_delay_alu instid0(VALU_DEP_1) | instskip(SKIP_3) | instid1(VALU_DEP_4)
	v_lshl_add_u32 v80, v81, 8, v80
	v_add_co_u32 v81, vcc_lo, v86, v64
	v_add_co_ci_u32_e32 v84, vcc_lo, v87, v65, vcc_lo
	v_add_co_u32 v86, vcc_lo, v145, v54
	v_ashrrev_i32_e32 v85, 31, v80
	v_add_co_ci_u32_e32 v87, vcc_lo, v146, v55, vcc_lo
.LBB2_89:                               ;   Parent Loop BB2_65 Depth=1
                                        ; =>  This Inner Loop Header: Depth=2
	v_add_co_u32 v145, vcc_lo, v80, v81
	s_delay_alu instid0(VALU_DEP_3)
	v_add_co_ci_u32_e32 v146, vcc_lo, v85, v84, vcc_lo
	s_clause 0x7
	flat_load_u8 v147, v[145:146] slc dlc
	flat_load_u8 v148, v[145:146] offset:32 slc dlc
	flat_load_u8 v149, v[145:146] offset:64 slc dlc
	;; [unrolled: 1-line block ×7, first 2 shown]
	v_add_co_u32 v145, vcc_lo, v80, v86
	v_add_co_ci_u32_e32 v146, vcc_lo, v85, v87, vcc_lo
	v_sub_co_u32 v70, vcc_lo, v70, v101
	v_subrev_co_ci_u32_e32 v71, vcc_lo, 0, v71, vcc_lo
	v_add_co_u32 v81, vcc_lo, v81, v115
	v_add_co_ci_u32_e32 v84, vcc_lo, v84, v116, vcc_lo
	v_add_co_u32 v86, vcc_lo, v86, v115
	v_add_co_ci_u32_e32 v87, vcc_lo, v87, v116, vcc_lo
	v_cmp_gt_i64_e32 vcc_lo, 1, v[70:71]
	s_waitcnt vmcnt(7) lgkmcnt(7)
	flat_store_b8 v[145:146], v147 glc slc dlc
	s_waitcnt vmcnt(6) lgkmcnt(7)
	flat_store_b8 v[145:146], v148 offset:32 glc slc dlc
	s_waitcnt vmcnt(5) lgkmcnt(7)
	flat_store_b8 v[145:146], v149 offset:64 glc slc dlc
	;; [unrolled: 2-line block ×7, first 2 shown]
	s_or_b32 s23, vcc_lo, s23
	s_delay_alu instid0(SALU_CYCLE_1)
	s_and_not1_b32 exec_lo, exec_lo, s23
	s_cbranch_execnz .LBB2_89
; %bb.90:                               ;   in Loop: Header=BB2_65 Depth=1
	s_or_b32 exec_lo, exec_lo, s23
.LBB2_91:                               ;   in Loop: Header=BB2_65 Depth=1
	s_delay_alu instid0(SALU_CYCLE_1) | instskip(SKIP_2) | instid1(VALU_DEP_1)
	s_or_b32 exec_lo, exec_lo, s11
	v_lshlrev_b64 v[80:81], 8, v[82:83]
	s_mov_b32 s23, exec_lo
	v_cmpx_ne_u64_e64 v[66:67], v[80:81]
	s_cbranch_execz .LBB2_95
; %bb.92:                               ;   in Loop: Header=BB2_65 Depth=1
	v_ashrrev_i32_e32 v71, 31, v144
	v_lshlrev_b32_e32 v70, 5, v70
	s_delay_alu instid0(VALU_DEP_2) | instskip(NEXT) | instid1(VALU_DEP_1)
	v_lshrrev_b32_e32 v71, 27, v71
	v_add_nc_u32_e32 v71, v144, v71
	s_delay_alu instid0(VALU_DEP_1) | instskip(NEXT) | instid1(VALU_DEP_1)
	v_and_b32_e32 v71, 0xffffffe0, v71
	v_sub_nc_u32_e32 v71, v144, v71
	s_delay_alu instid0(VALU_DEP_1) | instskip(NEXT) | instid1(VALU_DEP_1)
	v_sub_nc_u32_e32 v70, v71, v70
	v_ashrrev_i32_e32 v71, 31, v70
	v_add_co_u32 v82, vcc_lo, v80, v70
	s_delay_alu instid0(VALU_DEP_2) | instskip(NEXT) | instid1(VALU_DEP_2)
	v_add_co_ci_u32_e32 v83, vcc_lo, v81, v71, vcc_lo
	v_sub_co_u32 v66, vcc_lo, v66, v82
	s_delay_alu instid0(VALU_DEP_2) | instskip(NEXT) | instid1(VALU_DEP_1)
	v_sub_co_ci_u32_e32 v67, vcc_lo, v67, v83, vcc_lo
	v_cmp_lt_i64_e32 vcc_lo, 0, v[66:67]
	s_and_b32 exec_lo, exec_lo, vcc_lo
	s_cbranch_execz .LBB2_95
; %bb.93:                               ;   in Loop: Header=BB2_65 Depth=1
	v_add_co_u32 v82, vcc_lo, v32, v135
	v_add_co_ci_u32_e32 v27, vcc_lo, v33, v27, vcc_lo
	s_mov_b32 s24, 0
	s_delay_alu instid0(VALU_DEP_2) | instskip(NEXT) | instid1(VALU_DEP_2)
	v_add_co_u32 v68, vcc_lo, v82, v68
	v_add_co_ci_u32_e32 v27, vcc_lo, v27, v69, vcc_lo
	s_delay_alu instid0(VALU_DEP_2) | instskip(NEXT) | instid1(VALU_DEP_2)
	v_add_co_u32 v68, vcc_lo, v68, v80
	v_add_co_ci_u32_e32 v69, vcc_lo, v27, v81, vcc_lo
	v_add_co_u32 v8, vcc_lo, v8, v64
	v_add_co_ci_u32_e32 v9, vcc_lo, v9, v65, vcc_lo
	s_delay_alu instid0(VALU_DEP_4) | instskip(NEXT) | instid1(VALU_DEP_4)
	v_add_co_u32 v27, vcc_lo, v68, v70
	v_add_co_ci_u32_e32 v64, vcc_lo, v69, v71, vcc_lo
	v_add_co_u32 v6, vcc_lo, v6, v54
	v_add_co_ci_u32_e32 v7, vcc_lo, v7, v55, vcc_lo
.LBB2_94:                               ;   Parent Loop BB2_65 Depth=1
                                        ; =>  This Inner Loop Header: Depth=2
	s_delay_alu instid0(VALU_DEP_4) | instskip(NEXT) | instid1(VALU_DEP_4)
	v_add_co_u32 v54, vcc_lo, v8, v27
	v_add_co_ci_u32_e32 v55, vcc_lo, v9, v64, vcc_lo
	v_sub_co_u32 v66, vcc_lo, v66, v117
	v_subrev_co_ci_u32_e32 v67, vcc_lo, 0, v67, vcc_lo
	flat_load_u8 v65, v[54:55] slc dlc
	v_add_co_u32 v54, vcc_lo, v6, v27
	v_add_co_ci_u32_e32 v55, vcc_lo, v7, v64, vcc_lo
	v_cmp_gt_i64_e32 vcc_lo, 1, v[66:67]
	v_add_co_u32 v27, s11, v27, v117
	s_delay_alu instid0(VALU_DEP_1)
	v_add_co_ci_u32_e64 v64, s11, v64, v118, s11
	s_or_b32 s24, vcc_lo, s24
	s_waitcnt vmcnt(0) lgkmcnt(0)
	flat_store_b8 v[54:55], v65 glc slc dlc
	s_and_not1_b32 exec_lo, exec_lo, s24
	s_cbranch_execnz .LBB2_94
.LBB2_95:                               ;   in Loop: Header=BB2_65 Depth=1
	s_or_b32 exec_lo, exec_lo, s23
.LBB2_96:                               ;   in Loop: Header=BB2_65 Depth=1
	s_delay_alu instid0(SALU_CYCLE_1) | instskip(NEXT) | instid1(SALU_CYCLE_1)
	s_or_b32 exec_lo, exec_lo, s22
	s_xor_b32 s11, exec_lo, -1
.LBB2_97:                               ;   in Loop: Header=BB2_65 Depth=1
	s_or_b32 exec_lo, exec_lo, s12
.LBB2_98:                               ;   in Loop: Header=BB2_65 Depth=1
	s_and_saveexec_b32 s22, s11
	s_cbranch_execz .LBB2_700
; %bb.99:                               ;   in Loop: Header=BB2_65 Depth=1
	s_mov_b32 s23, exec_lo
	v_cmpx_lt_i64_e32 0, v[52:53]
	s_cbranch_execz .LBB2_699
; %bb.100:                              ;   in Loop: Header=BB2_65 Depth=1
	v_mov_b32_e32 v6, 0
	v_mov_b32_e32 v7, 0
	s_add_i32 s24, s14, -1
	s_cmp_gt_u32 s14, 1
	s_mov_b32 s25, 0
	s_cselect_b32 s26, -1, 0
.LBB2_101:                              ;   Parent Loop BB2_65 Depth=1
                                        ; =>  This Loop Header: Depth=2
                                        ;       Child Loop BB2_103 Depth 3
                                        ;         Child Loop BB2_112 Depth 4
                                        ;         Child Loop BB2_139 Depth 4
	;; [unrolled: 1-line block ×8, first 2 shown]
                                        ;       Child Loop BB2_242 Depth 3
                                        ;         Child Loop BB2_248 Depth 4
                                        ;         Child Loop BB2_275 Depth 4
                                        ;       Child Loop BB2_299 Depth 3
                                        ;         Child Loop BB2_301 Depth 4
                                        ;           Child Loop BB2_309 Depth 5
                                        ;           Child Loop BB2_341 Depth 5
	;; [unrolled: 1-line block ×8, first 2 shown]
                                        ;         Child Loop BB2_444 Depth 4
                                        ;           Child Loop BB2_450 Depth 5
                                        ;           Child Loop BB2_482 Depth 5
                                        ;       Child Loop BB2_507 Depth 3
                                        ;         Child Loop BB2_516 Depth 4
                                        ;         Child Loop BB2_543 Depth 4
	;; [unrolled: 1-line block ×8, first 2 shown]
                                        ;       Child Loop BB2_644 Depth 3
                                        ;         Child Loop BB2_650 Depth 4
                                        ;         Child Loop BB2_677 Depth 4
	v_sub_co_u32 v8, vcc_lo, v52, v6
	v_sub_co_ci_u32_e32 v9, vcc_lo, v53, v7, vcc_lo
	v_mov_b32_e32 v66, 0
	s_delay_alu instid0(VALU_DEP_2) | instskip(SKIP_1) | instid1(VALU_DEP_1)
	v_cmp_lt_i64_e32 vcc_lo, v[34:35], v[8:9]
	v_cndmask_b32_e32 v8, v8, v34, vcc_lo
	v_max_i32_e32 v68, 0, v8
	s_delay_alu instid0(VALU_DEP_1) | instskip(SKIP_1) | instid1(VALU_DEP_2)
	v_add_nc_u32_e32 v9, 31, v68
	v_cmp_lt_i32_e32 vcc_lo, 0, v8
	v_lshrrev_b32_e32 v9, 1, v9
	s_and_b32 s27, s21, vcc_lo
	s_delay_alu instid0(VALU_DEP_1) | instskip(NEXT) | instid1(VALU_DEP_1)
	v_and_b32_e32 v9, 0x3ffffff0, v9
	v_max_i32_e32 v69, s19, v9
	s_delay_alu instid0(VALU_DEP_1)
	v_dual_mov_b32 v9, 0 :: v_dual_mov_b32 v8, v69
	s_and_saveexec_b32 s28, s27
	s_cbranch_execz .LBB2_240
; %bb.102:                              ;   in Loop: Header=BB2_101 Depth=2
	v_mov_b32_e32 v66, 0
	v_mov_b32_e32 v8, v69
	s_mov_b32 s30, 1
	s_mov_b32 vcc_hi, -1
	s_mov_b32 s29, 0
.LBB2_103:                              ;   Parent Loop BB2_65 Depth=1
                                        ;     Parent Loop BB2_101 Depth=2
                                        ; =>    This Loop Header: Depth=3
                                        ;         Child Loop BB2_112 Depth 4
                                        ;         Child Loop BB2_139 Depth 4
	;; [unrolled: 1-line block ×8, first 2 shown]
	s_and_saveexec_b32 s11, s0
	s_cbranch_execz .LBB2_106
; %bb.104:                              ;   in Loop: Header=BB2_103 Depth=3
	s_cbranch_execnz .LBB2_764
; %bb.105:                              ;   in Loop: Header=BB2_103 Depth=3
	ds_load_b64 v[54:55], v0
	s_waitcnt lgkmcnt(0)
	v_add_co_u32 v9, vcc_lo, v54, v131
	v_add_co_ci_u32_e32 v27, vcc_lo, v55, v132, vcc_lo
	v_ashrrev_i32_e32 v55, 31, v66
	s_delay_alu instid0(VALU_DEP_3) | instskip(NEXT) | instid1(VALU_DEP_3)
	v_add_co_u32 v9, vcc_lo, v9, v6
	v_add_co_ci_u32_e32 v27, vcc_lo, v27, v7, vcc_lo
	s_delay_alu instid0(VALU_DEP_2) | instskip(NEXT) | instid1(VALU_DEP_2)
	v_add_co_u32 v54, vcc_lo, v9, v66
	v_add_co_ci_u32_e32 v55, vcc_lo, v27, v55, vcc_lo
	v_mov_b32_e32 v27, v26
	ds_store_b64 v0, v[54:55]
	ds_store_b64 v0, v[26:27]
.LBB2_106:                              ;   in Loop: Header=BB2_103 Depth=3
	s_or_b32 exec_lo, exec_lo, s11
	v_and_b32_e32 v9, 8, v98
	s_mov_b32 s12, -1
	s_mov_b32 s11, exec_lo
	s_delay_alu instid0(VALU_DEP_1)
	v_cmpx_ne_u32_e32 0, v9
	s_cbranch_execz .LBB2_120
; %bb.107:                              ;   in Loop: Header=BB2_103 Depth=3
	v_add_co_u32 v64, vcc_lo, v22, 8
	v_add_co_ci_u32_e32 v65, vcc_lo, 0, v23, vcc_lo
	v_add_co_u32 v54, vcc_lo, v18, 2
	v_add_co_ci_u32_e32 v55, vcc_lo, 0, v19, vcc_lo
	v_mov_b32_e32 v9, 1
	s_mov_b32 s12, exec_lo
	s_delay_alu instid0(VALU_DEP_2)
	v_cmpx_lt_u64_e64 v[64:65], v[54:55]
	s_cbranch_execz .LBB2_119
; %bb.108:                              ;   in Loop: Header=BB2_103 Depth=3
	v_mov_b32_e32 v9, 0
	s_mov_b32 s31, 0
                                        ; implicit-def: $sgpr34
	s_branch .LBB2_112
.LBB2_109:                              ;   in Loop: Header=BB2_112 Depth=4
	s_or_b32 exec_lo, exec_lo, s38
	v_mov_b32_e32 v27, 0
	s_or_not1_b32 s37, s37, exec_lo
.LBB2_110:                              ;   in Loop: Header=BB2_112 Depth=4
	s_or_b32 exec_lo, exec_lo, s36
	s_delay_alu instid0(VALU_DEP_1) | instskip(SKIP_2) | instid1(SALU_CYCLE_1)
	v_mov_b32_e32 v9, v27
	s_and_not1_b32 vcc_lo, s34, exec_lo
	s_and_b32 s34, s37, exec_lo
	s_or_b32 s34, vcc_lo, s34
.LBB2_111:                              ;   in Loop: Header=BB2_112 Depth=4
	s_or_b32 exec_lo, exec_lo, s35
	s_waitcnt vmcnt(0) lgkmcnt(0)
	v_add_co_u32 v64, vcc_lo, v22, 8
	v_add_co_ci_u32_e32 v65, vcc_lo, 0, v23, vcc_lo
	s_xor_b32 s35, s34, -1
	s_delay_alu instid0(VALU_DEP_1) | instskip(SKIP_1) | instid1(SALU_CYCLE_1)
	v_cmp_ge_u64_e32 vcc_lo, v[64:65], v[54:55]
	s_or_b32 vcc_lo, s35, vcc_lo
	s_and_b32 vcc_lo, exec_lo, vcc_lo
	s_delay_alu instid0(SALU_CYCLE_1) | instskip(NEXT) | instid1(SALU_CYCLE_1)
	s_or_b32 s31, vcc_lo, s31
	s_and_not1_b32 exec_lo, exec_lo, s31
	s_cbranch_execz .LBB2_118
.LBB2_112:                              ;   Parent Loop BB2_65 Depth=1
                                        ;     Parent Loop BB2_101 Depth=2
                                        ;       Parent Loop BB2_103 Depth=3
                                        ; =>      This Inner Loop Header: Depth=4
	s_sleep 1
	flat_load_b64 v[22:23], v[16:17] glc
	v_and_b32_e32 v27, 64, v98
	s_and_not1_b32 s34, s34, exec_lo
	s_mov_b32 s35, exec_lo
	s_delay_alu instid0(VALU_DEP_1)
	v_cmpx_eq_u32_e32 0, v27
	s_cbranch_execz .LBB2_111
; %bb.113:                              ;   in Loop: Header=BB2_112 Depth=4
	v_add_nc_u32_e32 v27, 1, v9
	s_mov_b32 s37, -1
	s_mov_b32 s36, exec_lo
	v_cmpx_lt_i32_e32 0x270e, v9
	s_cbranch_execz .LBB2_110
; %bb.114:                              ;   in Loop: Header=BB2_112 Depth=4
	s_cbranch_execnz .LBB2_779
; %bb.115:                              ;   in Loop: Header=BB2_112 Depth=4
	ds_load_b64 v[64:65], v0
	s_mov_b32 s38, exec_lo
	s_waitcnt vmcnt(0) lgkmcnt(0)
	s_waitcnt_vscnt null, 0x0
	flat_load_b32 v9, v[64:65] glc
	s_waitcnt vmcnt(0) lgkmcnt(0)
	buffer_gl1_inv
	buffer_gl0_inv
	v_cmpx_ne_u32_e32 0, v9
	s_cbranch_execz .LBB2_109
; %bb.116:                              ;   in Loop: Header=BB2_112 Depth=4
	ds_store_b32 v0, v9
	s_cbranch_execnz .LBB2_797
; %bb.117:                              ;   in Loop: Header=BB2_112 Depth=4
	v_or_b32_e32 v98, 64, v98
	s_xor_b32 s37, exec_lo, -1
	s_branch .LBB2_109
.LBB2_118:                              ;   in Loop: Header=BB2_103 Depth=3
	s_or_b32 exec_lo, exec_lo, s31
	v_and_b32_e32 v9, 8, v98
.LBB2_119:                              ;   in Loop: Header=BB2_103 Depth=3
	s_or_b32 exec_lo, exec_lo, s12
	s_delay_alu instid0(VALU_DEP_1)
	v_cmp_eq_u32_e32 vcc_lo, 0, v9
	;;#ASMSTART
	s_wakeup
	;;#ASMEND
	s_or_not1_b32 s12, vcc_lo, exec_lo
.LBB2_120:                              ;   in Loop: Header=BB2_103 Depth=3
	s_or_b32 exec_lo, exec_lo, s11
	v_sub_nc_u32_e32 v9, v68, v66
	s_xor_b32 s11, s12, -1
	s_delay_alu instid0(VALU_DEP_1)
	v_min_i32_e32 v8, v8, v9
	s_and_saveexec_b32 s12, s11
	s_cbranch_execz .LBB2_130
; %bb.121:                              ;   in Loop: Header=BB2_103 Depth=3
	v_and_b32_e32 v9, 0x100, v98
	v_and_b32_e32 v27, 7, v18
	s_mov_b32 s11, -1
	s_mov_b32 s31, exec_lo
                                        ; implicit-def: $vgpr54_vgpr55
	s_delay_alu instid0(VALU_DEP_2)
	v_cmpx_ne_u32_e32 0, v9
	s_cbranch_execz .LBB2_125
; %bb.122:                              ;   in Loop: Header=BB2_103 Depth=3
	v_mad_u64_u32 v[64:65], null, v27, 24, v[4:5]
	v_ashrrev_i32_e32 v9, 31, v8
	flat_load_b32 v54, v[64:65]
	flat_store_b64 v[64:65], v[8:9] offset:8
	s_waitcnt vmcnt(0) lgkmcnt(1)
	v_cmp_ne_u32_e32 vcc_lo, 1, v54
	v_cmp_eq_u32_e64 s11, 1, v54
                                        ; implicit-def: $vgpr54_vgpr55
	s_delay_alu instid0(VALU_DEP_1)
	s_and_saveexec_b32 s34, s11
	s_cbranch_execz .LBB2_124
; %bb.123:                              ;   in Loop: Header=BB2_103 Depth=3
	flat_load_b32 v54, v[64:65] offset:4 glc
	s_waitcnt vmcnt(0) lgkmcnt(0)
	v_ashrrev_i32_e32 v55, 31, v54
.LBB2_124:                              ;   in Loop: Header=BB2_103 Depth=3
	s_or_b32 exec_lo, exec_lo, s34
	s_delay_alu instid0(SALU_CYCLE_1)
	s_or_not1_b32 s11, vcc_lo, exec_lo
.LBB2_125:                              ;   in Loop: Header=BB2_103 Depth=3
	s_or_b32 exec_lo, exec_lo, s31
	s_and_saveexec_b32 vcc_lo, s11
; %bb.126:                              ;   in Loop: Header=BB2_103 Depth=3
	v_mad_i64_i32 v[54:55], null, v27, v99, 0
; %bb.127:                              ;   in Loop: Header=BB2_103 Depth=3
	s_or_b32 exec_lo, exec_lo, vcc_lo
	s_delay_alu instid0(VALU_DEP_1) | instskip(SKIP_1) | instid1(VALU_DEP_3)
	v_add_co_u32 v54, vcc_lo, v20, v54
	v_and_b32_e32 v9, 0x2000, v98
	v_add_co_ci_u32_e32 v55, vcc_lo, v21, v55, vcc_lo
	s_mov_b32 s11, exec_lo
	ds_store_b64 v0, v[54:55] offset:784
	v_cmpx_ne_u32_e32 0, v9
	s_cbranch_execz .LBB2_129
; %bb.128:                              ;   in Loop: Header=BB2_103 Depth=3
	ds_load_b64 v[54:55], v0 offset:584
	s_waitcnt lgkmcnt(0)
	v_add_co_u32 v54, vcc_lo, v54, 1
	v_add_co_ci_u32_e32 v55, vcc_lo, 0, v55, vcc_lo
	ds_store_b64 v0, v[54:55] offset:584
.LBB2_129:                              ;   in Loop: Header=BB2_103 Depth=3
	s_or_b32 exec_lo, exec_lo, s11
	v_add_co_u32 v18, vcc_lo, v18, 2
	v_add_co_ci_u32_e32 v19, vcc_lo, 0, v19, vcc_lo
.LBB2_130:                              ;   in Loop: Header=BB2_103 Depth=3
	s_or_b32 exec_lo, exec_lo, s12
	s_and_saveexec_b32 s11, s4
	s_cbranch_execz .LBB2_152
; %bb.131:                              ;   in Loop: Header=BB2_103 Depth=3
	s_and_saveexec_b32 s12, s5
	s_delay_alu instid0(SALU_CYCLE_1)
	s_xor_b32 s12, exec_lo, s12
	s_cbranch_execz .LBB2_149
; %bb.132:                              ;   in Loop: Header=BB2_103 Depth=3
	s_and_saveexec_b32 s31, s2
	s_cbranch_execz .LBB2_148
; %bb.133:                              ;   in Loop: Header=BB2_103 Depth=3
	s_mov_b32 s35, exec_lo
	s_mov_b32 s34, exec_lo
	v_mbcnt_lo_u32_b32 v9, s35, 0
	s_waitcnt lgkmcnt(0)
	s_waitcnt_vscnt null, 0x0
	buffer_gl1_inv
	buffer_gl0_inv
	v_cmpx_eq_u32_e32 0, v9
	s_cbranch_execz .LBB2_135
; %bb.134:                              ;   in Loop: Header=BB2_103 Depth=3
	s_bcnt1_i32_b32 vcc_lo, s35
	s_delay_alu instid0(SALU_CYCLE_1)
	v_dual_mov_b32 v55, v26 :: v_dual_mov_b32 v54, vcc_lo
	ds_add_u64 v0, v[54:55]
	s_cbranch_execnz .LBB2_815
.LBB2_135:                              ;   in Loop: Header=BB2_103 Depth=3
	s_or_b32 exec_lo, exec_lo, s34
	s_cbranch_execnz .LBB2_803
; %bb.136:                              ;   in Loop: Header=BB2_103 Depth=3
	ds_load_b64 v[54:55], v0
	v_add_co_u32 v10, vcc_lo, v10, v101
	v_add_co_ci_u32_e32 v11, vcc_lo, 0, v11, vcc_lo
	s_mov_b32 s34, exec_lo
	s_waitcnt lgkmcnt(0)
	s_delay_alu instid0(VALU_DEP_1)
	v_cmpx_lt_u64_e64 v[54:55], v[10:11]
	s_cbranch_execz .LBB2_147
; %bb.137:                              ;   in Loop: Header=BB2_103 Depth=3
	s_mov_b32 s35, 0
	s_mov_b32 s38, 0
                                        ; implicit-def: $sgpr36
                                        ; implicit-def: $sgpr37
	s_branch .LBB2_139
.LBB2_138:                              ;   in Loop: Header=BB2_139 Depth=4
	s_or_b32 exec_lo, exec_lo, s40
	s_delay_alu instid0(SALU_CYCLE_1) | instskip(NEXT) | instid1(SALU_CYCLE_1)
	s_and_b32 vcc_lo, exec_lo, vcc_lo
	s_or_b32 s35, vcc_lo, s35
	s_and_not1_b32 vcc_lo, s36, exec_lo
	s_and_b32 s36, s37, exec_lo
	s_delay_alu instid0(SALU_CYCLE_1)
	s_or_b32 s36, vcc_lo, s36
	s_and_not1_b32 exec_lo, exec_lo, s35
	s_cbranch_execz .LBB2_145
.LBB2_139:                              ;   Parent Loop BB2_65 Depth=1
                                        ;     Parent Loop BB2_101 Depth=2
                                        ;       Parent Loop BB2_103 Depth=3
                                        ; =>      This Inner Loop Header: Depth=4
	s_add_i32 s38, s38, 1
                                        ; implicit-def: $sgpr40
	s_delay_alu instid0(SALU_CYCLE_1) | instskip(SKIP_1) | instid1(SALU_CYCLE_1)
	s_cmpk_lg_i32 s38, 0x2710
	s_cselect_b32 s39, -1, 0
	s_and_b32 vcc_lo, exec_lo, s39
	s_cbranch_vccz .LBB2_143
.LBB2_140:                              ;   in Loop: Header=BB2_139 Depth=4
	s_and_not1_b32 s37, s37, exec_lo
	s_and_b32 s40, s40, exec_lo
	s_mov_b32 vcc_lo, -1
	s_or_b32 s37, s37, s40
	s_and_saveexec_b32 s40, s39
	s_cbranch_execz .LBB2_138
; %bb.141:                              ;   in Loop: Header=BB2_139 Depth=4
	s_sleep 1
	s_cbranch_execnz .LBB2_833
; %bb.142:                              ;   in Loop: Header=BB2_139 Depth=4
	ds_load_b64 v[54:55], v0
	s_and_not1_b32 s37, s37, exec_lo
	s_waitcnt lgkmcnt(0)
	v_cmp_ge_u64_e32 vcc_lo, v[54:55], v[10:11]
	s_or_not1_b32 vcc_lo, vcc_lo, exec_lo
	s_branch .LBB2_138
.LBB2_143:                              ;   in Loop: Header=BB2_139 Depth=4
	s_cbranch_execnz .LBB2_839
; %bb.144:                              ;   in Loop: Header=BB2_139 Depth=4
	ds_load_b64 v[54:55], v0
	s_and_not1_b32 s39, s39, exec_lo
	s_mov_b32 s38, 0
	s_mov_b32 s40, -1
	s_waitcnt lgkmcnt(0)
	flat_load_b32 v9, v[54:55] glc
	s_waitcnt vmcnt(0) lgkmcnt(0)
	buffer_gl1_inv
	buffer_gl0_inv
	v_cmp_eq_u32_e32 vcc_lo, 0, v9
	s_and_b32 vcc_lo, vcc_lo, exec_lo
	s_delay_alu instid0(SALU_CYCLE_1)
	s_or_b32 s39, s39, vcc_lo
	s_branch .LBB2_140
.LBB2_145:                              ;   in Loop: Header=BB2_103 Depth=3
	s_or_b32 exec_lo, exec_lo, s35
	s_and_saveexec_b32 vcc_lo, s36
	s_delay_alu instid0(SALU_CYCLE_1)
	s_xor_b32 vcc_lo, exec_lo, vcc_lo
	s_cbranch_execz .LBB2_147
; %bb.146:                              ;   in Loop: Header=BB2_103 Depth=3
	ds_store_b32 v0, v130
	s_cbranch_execnz .LBB2_953
.LBB2_147:                              ;   in Loop: Header=BB2_103 Depth=3
	s_or_b32 exec_lo, exec_lo, s34
	;;#ASMSTART
	s_wakeup
	;;#ASMEND
.LBB2_148:                              ;   in Loop: Header=BB2_103 Depth=3
	s_or_b32 exec_lo, exec_lo, s31
.LBB2_149:                              ;   in Loop: Header=BB2_103 Depth=3
	s_and_not1_saveexec_b32 s12, s12
	s_cbranch_execz .LBB2_151
; %bb.150:                              ;   in Loop: Header=BB2_103 Depth=3
	s_waitcnt lgkmcnt(0)
	s_waitcnt_vscnt null, 0x0
	buffer_gl1_inv
	buffer_gl0_inv
	s_barrier
.LBB2_151:                              ;   in Loop: Header=BB2_103 Depth=3
	s_or_b32 exec_lo, exec_lo, s12
.LBB2_152:                              ;   in Loop: Header=BB2_103 Depth=3
	s_delay_alu instid0(SALU_CYCLE_1)
	s_or_b32 exec_lo, exec_lo, s11
	s_cbranch_execnz .LBB2_762
; %bb.153:                              ;   in Loop: Header=BB2_103 Depth=3
	ds_load_b32 v27, v0
	v_and_b32_e32 v9, 0x4000, v98
	s_xor_b32 s11, s3, -1
	s_delay_alu instid0(VALU_DEP_1) | instskip(SKIP_1) | instid1(SALU_CYCLE_1)
	v_cmp_ne_u32_e32 vcc_lo, 0, v9
	s_and_b32 s12, s11, vcc_lo
	s_and_saveexec_b32 s11, s12
	s_cbranch_execz .LBB2_175
; %bb.154:                              ;   in Loop: Header=BB2_103 Depth=3
	s_and_saveexec_b32 s12, s5
	s_delay_alu instid0(SALU_CYCLE_1)
	s_xor_b32 s12, exec_lo, s12
	s_cbranch_execz .LBB2_172
; %bb.155:                              ;   in Loop: Header=BB2_103 Depth=3
	s_and_saveexec_b32 s31, s2
	s_cbranch_execz .LBB2_171
; %bb.156:                              ;   in Loop: Header=BB2_103 Depth=3
	s_mov_b32 s35, exec_lo
	s_mov_b32 s34, exec_lo
	v_mbcnt_lo_u32_b32 v9, s35, 0
	s_waitcnt lgkmcnt(0)
	s_waitcnt_vscnt null, 0x0
	buffer_gl1_inv
	buffer_gl0_inv
	v_cmpx_eq_u32_e32 0, v9
	s_cbranch_execz .LBB2_158
; %bb.157:                              ;   in Loop: Header=BB2_103 Depth=3
	s_bcnt1_i32_b32 vcc_lo, s35
	s_delay_alu instid0(SALU_CYCLE_1)
	v_dual_mov_b32 v55, v26 :: v_dual_mov_b32 v54, vcc_lo
	ds_add_u64 v0, v[54:55]
	s_cbranch_execnz .LBB2_831
.LBB2_158:                              ;   in Loop: Header=BB2_103 Depth=3
	s_or_b32 exec_lo, exec_lo, s34
	s_cbranch_execnz .LBB2_829
; %bb.159:                              ;   in Loop: Header=BB2_103 Depth=3
	ds_load_b64 v[54:55], v0
	v_add_co_u32 v10, vcc_lo, v10, v101
	v_add_co_ci_u32_e32 v11, vcc_lo, 0, v11, vcc_lo
	s_mov_b32 s34, exec_lo
	s_waitcnt lgkmcnt(0)
	s_delay_alu instid0(VALU_DEP_1)
	v_cmpx_lt_u64_e64 v[54:55], v[10:11]
	s_cbranch_execz .LBB2_170
; %bb.160:                              ;   in Loop: Header=BB2_103 Depth=3
	s_mov_b32 s35, 0
	s_mov_b32 s38, 0
                                        ; implicit-def: $sgpr36
                                        ; implicit-def: $sgpr37
	s_branch .LBB2_162
.LBB2_161:                              ;   in Loop: Header=BB2_162 Depth=4
	s_or_b32 exec_lo, exec_lo, s40
	s_delay_alu instid0(SALU_CYCLE_1) | instskip(NEXT) | instid1(SALU_CYCLE_1)
	s_and_b32 vcc_lo, exec_lo, vcc_lo
	s_or_b32 s35, vcc_lo, s35
	s_and_not1_b32 vcc_lo, s36, exec_lo
	s_and_b32 s36, s37, exec_lo
	s_delay_alu instid0(SALU_CYCLE_1)
	s_or_b32 s36, vcc_lo, s36
	s_and_not1_b32 exec_lo, exec_lo, s35
	s_cbranch_execz .LBB2_168
.LBB2_162:                              ;   Parent Loop BB2_65 Depth=1
                                        ;     Parent Loop BB2_101 Depth=2
                                        ;       Parent Loop BB2_103 Depth=3
                                        ; =>      This Inner Loop Header: Depth=4
	s_add_i32 s38, s38, 1
                                        ; implicit-def: $sgpr40
	s_delay_alu instid0(SALU_CYCLE_1) | instskip(SKIP_1) | instid1(SALU_CYCLE_1)
	s_cmpk_lg_i32 s38, 0x2710
	s_cselect_b32 s39, -1, 0
	s_and_b32 vcc_lo, exec_lo, s39
	s_cbranch_vccz .LBB2_166
.LBB2_163:                              ;   in Loop: Header=BB2_162 Depth=4
	s_and_not1_b32 s37, s37, exec_lo
	s_and_b32 s40, s40, exec_lo
	s_mov_b32 vcc_lo, -1
	s_or_b32 s37, s37, s40
	s_and_saveexec_b32 s40, s39
	s_cbranch_execz .LBB2_161
; %bb.164:                              ;   in Loop: Header=BB2_162 Depth=4
	s_sleep 1
	s_cbranch_execnz .LBB2_871
; %bb.165:                              ;   in Loop: Header=BB2_162 Depth=4
	ds_load_b64 v[54:55], v0
	s_and_not1_b32 s37, s37, exec_lo
	s_waitcnt lgkmcnt(0)
	v_cmp_ge_u64_e32 vcc_lo, v[54:55], v[10:11]
	s_or_not1_b32 vcc_lo, vcc_lo, exec_lo
	s_branch .LBB2_161
.LBB2_166:                              ;   in Loop: Header=BB2_162 Depth=4
	s_cbranch_execnz .LBB2_877
; %bb.167:                              ;   in Loop: Header=BB2_162 Depth=4
	ds_load_b64 v[54:55], v0
	s_and_not1_b32 s39, s39, exec_lo
	s_mov_b32 s38, 0
	s_mov_b32 s40, -1
	s_waitcnt lgkmcnt(0)
	flat_load_b32 v9, v[54:55] glc
	s_waitcnt vmcnt(0) lgkmcnt(0)
	buffer_gl1_inv
	buffer_gl0_inv
	v_cmp_eq_u32_e32 vcc_lo, 0, v9
	s_and_b32 vcc_lo, vcc_lo, exec_lo
	s_delay_alu instid0(SALU_CYCLE_1)
	s_or_b32 s39, s39, vcc_lo
	s_branch .LBB2_163
.LBB2_168:                              ;   in Loop: Header=BB2_103 Depth=3
	s_or_b32 exec_lo, exec_lo, s35
	s_and_saveexec_b32 vcc_lo, s36
	s_delay_alu instid0(SALU_CYCLE_1)
	s_xor_b32 vcc_lo, exec_lo, vcc_lo
	s_cbranch_execz .LBB2_170
; %bb.169:                              ;   in Loop: Header=BB2_103 Depth=3
	ds_store_b32 v0, v130
	s_cbranch_execnz .LBB2_965
.LBB2_170:                              ;   in Loop: Header=BB2_103 Depth=3
	s_or_b32 exec_lo, exec_lo, s34
	;;#ASMSTART
	s_wakeup
	;;#ASMEND
.LBB2_171:                              ;   in Loop: Header=BB2_103 Depth=3
	s_or_b32 exec_lo, exec_lo, s31
.LBB2_172:                              ;   in Loop: Header=BB2_103 Depth=3
	s_and_not1_saveexec_b32 s12, s12
	s_cbranch_execz .LBB2_174
; %bb.173:                              ;   in Loop: Header=BB2_103 Depth=3
	s_waitcnt lgkmcnt(0)
	s_waitcnt_vscnt null, 0x0
	buffer_gl1_inv
	buffer_gl0_inv
	s_barrier
.LBB2_174:                              ;   in Loop: Header=BB2_103 Depth=3
	s_or_b32 exec_lo, exec_lo, s12
.LBB2_175:                              ;   in Loop: Header=BB2_103 Depth=3
	s_delay_alu instid0(SALU_CYCLE_1)
	s_or_b32 exec_lo, exec_lo, s11
	s_cbranch_execnz .LBB2_781
; %bb.176:                              ;   in Loop: Header=BB2_103 Depth=3
	ds_load_b64 v[54:55], v0
	v_mov_b32_e32 v9, 0
	s_waitcnt lgkmcnt(0)
	v_cmp_eq_u64_e32 vcc_lo, 0, v[54:55]
	s_or_b32 s11, vcc_lo, vcc_lo
	s_delay_alu instid0(SALU_CYCLE_1)
	s_and_b32 vcc_lo, exec_lo, s11
	s_cbranch_vccnz .LBB2_210
; %bb.177:                              ;   in Loop: Header=BB2_103 Depth=3
	s_mov_b32 s11, -1
	s_and_saveexec_b32 s12, s1
	s_cbranch_execz .LBB2_179
; %bb.178:                              ;   in Loop: Header=BB2_103 Depth=3
	ds_load_b32 v9, v0 offset:720
	s_waitcnt lgkmcnt(0)
	v_and_b32_e32 v9, 15, v9
	s_delay_alu instid0(VALU_DEP_1)
	v_cmp_eq_u32_e32 vcc_lo, 0, v9
	s_or_not1_b32 s11, vcc_lo, exec_lo
.LBB2_179:                              ;   in Loop: Header=BB2_103 Depth=3
	s_or_b32 exec_lo, exec_lo, s12
	s_and_saveexec_b32 s12, s6
	s_cbranch_execz .LBB2_181
; %bb.180:                              ;   in Loop: Header=BB2_103 Depth=3
	ds_load_b32 v9, v0 offset:784
	s_waitcnt lgkmcnt(0)
	v_and_b32_e32 v9, 15, v9
	s_delay_alu instid0(VALU_DEP_1) | instskip(SKIP_3) | instid1(SALU_CYCLE_1)
	v_cmp_eq_u32_e32 vcc_lo, 0, v9
	s_and_b32 vcc_lo, s11, vcc_lo
	s_and_not1_b32 s11, s11, exec_lo
	s_and_b32 vcc_lo, vcc_lo, exec_lo
	s_or_b32 s11, s11, vcc_lo
.LBB2_181:                              ;   in Loop: Header=BB2_103 Depth=3
	s_or_b32 exec_lo, exec_lo, s12
	v_cmp_eq_u32_e32 vcc_lo, 0, v27
	s_xor_b32 s11, s11, -1
	v_mov_b32_e32 v27, 0
	v_cndmask_b32_e64 v54, 0, 1, s11
	;;#ASMSTART
	;;#ASMEND
	v_dual_cndmask_b32 v9, 0, v8 :: v_dual_mov_b32 v70, v0
	s_delay_alu instid0(VALU_DEP_2) | instskip(SKIP_2) | instid1(VALU_DEP_3)
	v_cmp_ne_u32_e32 vcc_lo, 0, v54
	v_mov_b32_e32 v81, v36
	s_mov_b32 s11, -1
	v_mov_b32_e32 v67, v9
	s_cbranch_vccnz .LBB2_197
; %bb.182:                              ;   in Loop: Header=BB2_103 Depth=3
	v_ashrrev_i32_e32 v27, 31, v9
	s_mov_b32 s12, exec_lo
	s_delay_alu instid0(VALU_DEP_1) | instskip(NEXT) | instid1(VALU_DEP_1)
	v_lshrrev_b32_e32 v27, 22, v27
	v_add_nc_u32_e32 v27, v9, v27
	s_delay_alu instid0(VALU_DEP_1) | instskip(NEXT) | instid1(VALU_DEP_1)
	v_ashrrev_i32_e32 v27, 10, v27
	v_sub_nc_u32_e32 v71, v27, v36
	s_delay_alu instid0(VALU_DEP_1)
	v_cmpx_lt_i32_e32 0, v71
	s_cbranch_execz .LBB2_187
; %bb.183:                              ;   in Loop: Header=BB2_103 Depth=3
	s_cbranch_execnz .LBB2_841
; %bb.184:                              ;   in Loop: Header=BB2_103 Depth=3
	ds_load_b64 v[54:55], v0
	v_dual_mov_b32 v65, v49 :: v_dual_mov_b32 v64, v48
	s_mov_b32 s31, 0
.LBB2_185:                              ;   Parent Loop BB2_65 Depth=1
                                        ;     Parent Loop BB2_101 Depth=2
                                        ;       Parent Loop BB2_103 Depth=3
                                        ; =>      This Inner Loop Header: Depth=4
	s_waitcnt lgkmcnt(0)
	s_delay_alu instid0(VALU_DEP_1) | instskip(NEXT) | instid1(VALU_DEP_2)
	v_add_co_u32 v144, vcc_lo, v54, v64
	v_add_co_ci_u32_e32 v145, vcc_lo, v55, v65, vcc_lo
	v_sub_nc_u32_e32 v71, v71, v101
	v_add_co_u32 v64, s11, v64, v103
	s_clause 0x1
	global_load_b128 v[80:83], v[144:145], off slc dlc
	global_load_b128 v[84:87], v[144:145], off offset:512 slc dlc
	v_add_co_ci_u32_e64 v65, s11, v65, v112, s11
	v_cmp_gt_i32_e32 vcc_lo, 1, v71
	s_waitcnt vmcnt(1)
	global_store_b128 v[144:145], v[80:83], off glc slc dlc
	s_waitcnt vmcnt(0)
	global_store_b128 v[144:145], v[84:87], off offset:512 glc slc dlc
	s_or_b32 s31, vcc_lo, s31
	s_delay_alu instid0(SALU_CYCLE_1)
	s_and_not1_b32 exec_lo, exec_lo, s31
	s_cbranch_execnz .LBB2_185
; %bb.186:                              ;   in Loop: Header=BB2_103 Depth=3
	s_or_b32 exec_lo, exec_lo, s31
.LBB2_187:                              ;   in Loop: Header=BB2_103 Depth=3
	s_delay_alu instid0(SALU_CYCLE_1) | instskip(SKIP_3) | instid1(VALU_DEP_1)
	s_or_b32 exec_lo, exec_lo, s12
	v_dual_mov_b32 v27, 0 :: v_dual_lshlrev_b32 v64, 10, v27
	s_mov_b32 s11, 0
	s_mov_b32 s31, exec_lo
                                        ; implicit-def: $vgpr67
                                        ; implicit-def: $vgpr70
                                        ; implicit-def: $vgpr81
	v_cmpx_ne_u32_e64 v9, v64
	s_cbranch_execz .LBB2_196
; %bb.188:                              ;   in Loop: Header=BB2_103 Depth=3
	v_lshlrev_b32_e32 v27, 5, v71
	v_sub_nc_u32_e32 v55, v9, v64
	s_mov_b32 s34, exec_lo
	s_delay_alu instid0(VALU_DEP_2) | instskip(NEXT) | instid1(VALU_DEP_2)
	v_sub_nc_u32_e32 v27, v100, v27
	v_ashrrev_i32_e32 v65, 31, v55
	s_delay_alu instid0(VALU_DEP_2) | instskip(NEXT) | instid1(VALU_DEP_2)
	v_ashrrev_i32_e32 v54, 31, v27
	v_lshrrev_b32_e32 v65, 23, v65
	s_delay_alu instid0(VALU_DEP_2) | instskip(NEXT) | instid1(VALU_DEP_2)
	v_lshrrev_b32_e32 v54, 27, v54
	v_add_nc_u32_e32 v70, v55, v65
	s_delay_alu instid0(VALU_DEP_2) | instskip(NEXT) | instid1(VALU_DEP_2)
	v_add_nc_u32_e32 v54, v27, v54
	v_and_b32_e32 v65, 0xfffffe00, v70
	v_ashrrev_i32_e32 v70, 9, v70
	s_delay_alu instid0(VALU_DEP_3) | instskip(NEXT) | instid1(VALU_DEP_3)
	v_and_b32_e32 v67, 0xffffffe0, v54
	v_sub_nc_u32_e32 v80, v55, v65
	v_ashrrev_i32_e32 v54, 5, v54
	s_delay_alu instid0(VALU_DEP_3) | instskip(NEXT) | instid1(VALU_DEP_3)
	v_sub_nc_u32_e32 v71, v27, v67
	v_cmp_lt_i32_e32 vcc_lo, 15, v80
	s_delay_alu instid0(VALU_DEP_2) | instskip(SKIP_1) | instid1(VALU_DEP_2)
	v_lshlrev_b32_e32 v27, 4, v71
	v_add_co_ci_u32_e64 v70, s11, 0, v70, vcc_lo
	v_lshl_add_u32 v67, v54, 9, v27
	s_delay_alu instid0(VALU_DEP_2) | instskip(NEXT) | instid1(VALU_DEP_2)
	v_sub_nc_u32_e32 v82, v70, v54
	v_sub_nc_u32_e32 v27, v55, v67
	s_delay_alu instid0(VALU_DEP_1)
	v_cmpx_lt_i32_e32 15, v27
	s_cbranch_execz .LBB2_193
; %bb.189:                              ;   in Loop: Header=BB2_103 Depth=3
	s_cbranch_execnz .LBB2_887
; %bb.190:                              ;   in Loop: Header=BB2_103 Depth=3
	ds_load_b64 v[54:55], v0
	v_add_nc_u32_e32 v67, v67, v64
	s_mov_b32 s35, 0
	s_delay_alu instid0(VALU_DEP_1)
	v_ashrrev_i32_e32 v70, 31, v67
.LBB2_191:                              ;   Parent Loop BB2_65 Depth=1
                                        ;     Parent Loop BB2_101 Depth=2
                                        ;       Parent Loop BB2_103 Depth=3
                                        ; =>      This Inner Loop Header: Depth=4
	s_waitcnt lgkmcnt(0)
	v_add_co_u32 v144, s11, v54, v67
	s_delay_alu instid0(VALU_DEP_1)
	v_add_co_ci_u32_e64 v145, s11, v55, v70, s11
	v_sub_nc_u32_e32 v27, v27, v102
	v_add_co_u32 v67, s12, v67, v113
	global_load_b128 v[83:86], v[144:145], off slc dlc
	v_sub_nc_u32_e32 v82, v82, v101
	v_cmp_gt_i32_e64 s11, 16, v27
	v_add_co_ci_u32_e64 v70, s12, v70, v114, s12
	s_delay_alu instid0(VALU_DEP_2)
	s_or_b32 s35, s11, s35
	s_waitcnt vmcnt(0)
	global_store_b128 v[144:145], v[83:86], off glc slc dlc
	s_and_not1_b32 exec_lo, exec_lo, s35
	s_cbranch_execnz .LBB2_191
; %bb.192:                              ;   in Loop: Header=BB2_103 Depth=3
	s_or_b32 exec_lo, exec_lo, s35
.LBB2_193:                              ;   in Loop: Header=BB2_103 Depth=3
	s_delay_alu instid0(SALU_CYCLE_1) | instskip(SKIP_3) | instid1(VALU_DEP_1)
	s_or_b32 exec_lo, exec_lo, s34
	v_dual_mov_b32 v27, 0 :: v_dual_and_b32 v54, 15, v9
	s_mov_b32 s12, 0
	s_mov_b32 s34, exec_lo
                                        ; implicit-def: $vgpr70
                                        ; implicit-def: $vgpr81
	v_cndmask_b32_e32 v67, v80, v54, vcc_lo
	s_delay_alu instid0(VALU_DEP_1)
	v_cmpx_ne_u32_e32 0, v67
; %bb.194:                              ;   in Loop: Header=BB2_103 Depth=3
	v_cmp_lt_i32_e64 s11, 0, v82
	v_sub_nc_u32_e32 v54, v80, v54
	s_mov_b32 s12, exec_lo
	s_delay_alu instid0(VALU_DEP_2) | instskip(NEXT) | instid1(VALU_DEP_1)
	v_cndmask_b32_e64 v27, 0, v101, s11
	v_sub_nc_u32_e32 v27, v27, v82
	s_delay_alu instid0(VALU_DEP_1) | instskip(NEXT) | instid1(VALU_DEP_1)
	v_lshl_add_u32 v70, v27, 5, v71
	v_ashrrev_i32_e32 v27, 31, v70
	s_delay_alu instid0(VALU_DEP_1) | instskip(NEXT) | instid1(VALU_DEP_1)
	v_lshrrev_b32_e32 v27, 27, v27
	v_dual_cndmask_b32 v54, 0, v54 :: v_dual_add_nc_u32 v55, v70, v27
	s_delay_alu instid0(VALU_DEP_1) | instskip(NEXT) | instid1(VALU_DEP_2)
	v_add3_u32 v27, v65, v64, v54
	v_ashrrev_i32_e32 v81, 5, v55
; %bb.195:                              ;   in Loop: Header=BB2_103 Depth=3
	s_or_b32 exec_lo, exec_lo, s34
	s_delay_alu instid0(SALU_CYCLE_1)
	s_and_b32 s11, s12, exec_lo
.LBB2_196:                              ;   in Loop: Header=BB2_103 Depth=3
	s_or_b32 exec_lo, exec_lo, s31
.LBB2_197:                              ;   in Loop: Header=BB2_103 Depth=3
	s_and_saveexec_b32 s12, s11
	s_cbranch_execz .LBB2_209
; %bb.198:                              ;   in Loop: Header=BB2_103 Depth=3
	s_delay_alu instid0(VALU_DEP_1) | instskip(SKIP_1) | instid1(VALU_DEP_1)
	v_ashrrev_i32_e32 v54, 31, v67
	s_mov_b32 s11, exec_lo
	v_lshrrev_b32_e32 v54, 24, v54
	s_delay_alu instid0(VALU_DEP_1) | instskip(NEXT) | instid1(VALU_DEP_1)
	v_add_nc_u32_e32 v54, v67, v54
	v_ashrrev_i32_e32 v80, 8, v54
	s_delay_alu instid0(VALU_DEP_1) | instskip(NEXT) | instid1(VALU_DEP_1)
	v_sub_nc_u32_e32 v71, v80, v81
	v_cmpx_lt_i32_e32 0, v71
	s_cbranch_execz .LBB2_203
; %bb.199:                              ;   in Loop: Header=BB2_103 Depth=3
	s_cbranch_execnz .LBB2_837
; %bb.200:                              ;   in Loop: Header=BB2_103 Depth=3
	v_ashrrev_i32_e32 v54, 31, v70
	s_mov_b32 s31, 0
	s_delay_alu instid0(VALU_DEP_1) | instskip(NEXT) | instid1(VALU_DEP_1)
	v_lshrrev_b32_e32 v54, 27, v54
	v_add_nc_u32_e32 v64, v70, v54
	ds_load_b64 v[54:55], v0
	v_lshlrev_b32_e32 v65, 8, v81
	v_and_b32_e32 v64, 0xffffffe0, v64
	s_delay_alu instid0(VALU_DEP_1) | instskip(NEXT) | instid1(VALU_DEP_1)
	v_sub_nc_u32_e32 v64, v70, v64
	v_add3_u32 v81, v27, v64, v65
	s_delay_alu instid0(VALU_DEP_1)
	v_ashrrev_i32_e32 v82, 31, v81
	s_waitcnt lgkmcnt(0)
	v_dual_mov_b32 v65, v55 :: v_dual_mov_b32 v64, v54
.LBB2_201:                              ;   Parent Loop BB2_65 Depth=1
                                        ;     Parent Loop BB2_101 Depth=2
                                        ;       Parent Loop BB2_103 Depth=3
                                        ; =>      This Inner Loop Header: Depth=4
	s_delay_alu instid0(VALU_DEP_1) | instskip(NEXT) | instid1(VALU_DEP_2)
	v_add_co_u32 v83, vcc_lo, v81, v64
	v_add_co_ci_u32_e32 v84, vcc_lo, v82, v65, vcc_lo
	v_sub_nc_u32_e32 v71, v71, v101
	s_clause 0x7
	flat_load_u8 v85, v[83:84] slc dlc
	flat_load_u8 v86, v[83:84] offset:32 slc dlc
	flat_load_u8 v87, v[83:84] offset:64 slc dlc
	;; [unrolled: 1-line block ×7, first 2 shown]
	v_add_co_u32 v83, vcc_lo, v81, v54
	v_add_co_ci_u32_e32 v84, vcc_lo, v82, v55, vcc_lo
	v_add_co_u32 v64, vcc_lo, v64, v115
	v_add_co_ci_u32_e32 v65, vcc_lo, v65, v116, vcc_lo
	;; [unrolled: 2-line block ×3, first 2 shown]
	v_cmp_gt_i32_e32 vcc_lo, 1, v71
	s_waitcnt vmcnt(7) lgkmcnt(7)
	flat_store_b8 v[83:84], v85 glc slc dlc
	s_waitcnt vmcnt(6) lgkmcnt(7)
	flat_store_b8 v[83:84], v86 offset:32 glc slc dlc
	s_waitcnt vmcnt(5) lgkmcnt(7)
	flat_store_b8 v[83:84], v87 offset:64 glc slc dlc
	;; [unrolled: 2-line block ×7, first 2 shown]
	s_or_b32 s31, vcc_lo, s31
	s_delay_alu instid0(SALU_CYCLE_1)
	s_and_not1_b32 exec_lo, exec_lo, s31
	s_cbranch_execnz .LBB2_201
; %bb.202:                              ;   in Loop: Header=BB2_103 Depth=3
	s_or_b32 exec_lo, exec_lo, s31
.LBB2_203:                              ;   in Loop: Header=BB2_103 Depth=3
	s_delay_alu instid0(SALU_CYCLE_1) | instskip(SKIP_2) | instid1(VALU_DEP_1)
	s_or_b32 exec_lo, exec_lo, s11
	v_lshlrev_b32_e32 v54, 8, v80
	s_mov_b32 s31, exec_lo
	v_cmpx_ne_u32_e64 v67, v54
	s_cbranch_execz .LBB2_208
; %bb.204:                              ;   in Loop: Header=BB2_103 Depth=3
	v_ashrrev_i32_e32 v55, 31, v70
	v_lshlrev_b32_e32 v64, 5, v71
	s_delay_alu instid0(VALU_DEP_2) | instskip(NEXT) | instid1(VALU_DEP_1)
	v_lshrrev_b32_e32 v55, 27, v55
	v_add_nc_u32_e32 v55, v70, v55
	s_delay_alu instid0(VALU_DEP_1) | instskip(NEXT) | instid1(VALU_DEP_1)
	v_and_b32_e32 v55, 0xffffffe0, v55
	v_sub_nc_u32_e32 v55, v70, v55
	s_delay_alu instid0(VALU_DEP_1) | instskip(NEXT) | instid1(VALU_DEP_1)
	v_sub_nc_u32_e32 v55, v55, v64
	v_add_nc_u32_e32 v65, v54, v55
	s_delay_alu instid0(VALU_DEP_1) | instskip(NEXT) | instid1(VALU_DEP_1)
	v_sub_nc_u32_e32 v64, v67, v65
	v_cmp_lt_i32_e32 vcc_lo, 0, v64
	s_and_b32 exec_lo, exec_lo, vcc_lo
	s_cbranch_execz .LBB2_208
; %bb.205:                              ;   in Loop: Header=BB2_103 Depth=3
	s_cbranch_execnz .LBB2_879
; %bb.206:                              ;   in Loop: Header=BB2_103 Depth=3
	ds_load_b64 v[54:55], v0
	v_add_nc_u32_e32 v27, v65, v27
	s_mov_b32 s34, 0
	s_delay_alu instid0(VALU_DEP_1)
	v_ashrrev_i32_e32 v65, 31, v27
.LBB2_207:                              ;   Parent Loop BB2_65 Depth=1
                                        ;     Parent Loop BB2_101 Depth=2
                                        ;       Parent Loop BB2_103 Depth=3
                                        ; =>      This Inner Loop Header: Depth=4
	s_waitcnt lgkmcnt(0)
	v_add_co_u32 v70, vcc_lo, v54, v27
	s_delay_alu instid0(VALU_DEP_2)
	v_add_co_ci_u32_e32 v71, vcc_lo, v55, v65, vcc_lo
	v_sub_nc_u32_e32 v64, v64, v117
	v_add_co_u32 v27, s11, v27, v117
	flat_load_u8 v67, v[70:71] slc dlc
	v_add_co_ci_u32_e64 v65, s11, v65, v118, s11
	v_cmp_gt_i32_e32 vcc_lo, 1, v64
	s_or_b32 s34, vcc_lo, s34
	s_waitcnt vmcnt(0) lgkmcnt(0)
	flat_store_b8 v[70:71], v67 glc slc dlc
	s_and_not1_b32 exec_lo, exec_lo, s34
	s_cbranch_execnz .LBB2_207
.LBB2_208:                              ;   in Loop: Header=BB2_103 Depth=3
	s_or_b32 exec_lo, exec_lo, s31
.LBB2_209:                              ;   in Loop: Header=BB2_103 Depth=3
	s_delay_alu instid0(SALU_CYCLE_1)
	s_or_b32 exec_lo, exec_lo, s12
.LBB2_210:                              ;   in Loop: Header=BB2_103 Depth=3
	s_and_saveexec_b32 s11, s4
	s_cbranch_execz .LBB2_232
; %bb.211:                              ;   in Loop: Header=BB2_103 Depth=3
	s_and_saveexec_b32 s12, s5
	s_delay_alu instid0(SALU_CYCLE_1)
	s_xor_b32 s12, exec_lo, s12
	s_cbranch_execz .LBB2_229
; %bb.212:                              ;   in Loop: Header=BB2_103 Depth=3
	s_and_saveexec_b32 s31, s2
	s_cbranch_execz .LBB2_228
; %bb.213:                              ;   in Loop: Header=BB2_103 Depth=3
	s_mov_b32 s35, exec_lo
	s_mov_b32 s34, exec_lo
	v_mbcnt_lo_u32_b32 v27, s35, 0
	s_waitcnt lgkmcnt(0)
	s_waitcnt_vscnt null, 0x0
	buffer_gl1_inv
	buffer_gl0_inv
	v_cmpx_eq_u32_e32 0, v27
	s_cbranch_execz .LBB2_215
; %bb.214:                              ;   in Loop: Header=BB2_103 Depth=3
	s_bcnt1_i32_b32 vcc_lo, s35
	s_delay_alu instid0(SALU_CYCLE_1)
	v_dual_mov_b32 v55, v26 :: v_dual_mov_b32 v54, vcc_lo
	ds_add_u64 v0, v[54:55]
	s_cbranch_execnz .LBB2_873
.LBB2_215:                              ;   in Loop: Header=BB2_103 Depth=3
	s_or_b32 exec_lo, exec_lo, s34
	s_cbranch_execnz .LBB2_857
; %bb.216:                              ;   in Loop: Header=BB2_103 Depth=3
	ds_load_b64 v[54:55], v0
	v_add_co_u32 v10, vcc_lo, v10, v101
	v_add_co_ci_u32_e32 v11, vcc_lo, 0, v11, vcc_lo
	s_mov_b32 s34, exec_lo
	s_waitcnt lgkmcnt(0)
	s_delay_alu instid0(VALU_DEP_1)
	v_cmpx_lt_u64_e64 v[54:55], v[10:11]
	s_cbranch_execz .LBB2_227
; %bb.217:                              ;   in Loop: Header=BB2_103 Depth=3
	s_mov_b32 s35, 0
	s_mov_b32 s38, 0
                                        ; implicit-def: $sgpr36
                                        ; implicit-def: $sgpr37
	s_branch .LBB2_219
.LBB2_218:                              ;   in Loop: Header=BB2_219 Depth=4
	s_or_b32 exec_lo, exec_lo, s40
	s_delay_alu instid0(SALU_CYCLE_1) | instskip(NEXT) | instid1(SALU_CYCLE_1)
	s_and_b32 vcc_lo, exec_lo, vcc_lo
	s_or_b32 s35, vcc_lo, s35
	s_and_not1_b32 vcc_lo, s36, exec_lo
	s_and_b32 s36, s37, exec_lo
	s_delay_alu instid0(SALU_CYCLE_1)
	s_or_b32 s36, vcc_lo, s36
	s_and_not1_b32 exec_lo, exec_lo, s35
	s_cbranch_execz .LBB2_225
.LBB2_219:                              ;   Parent Loop BB2_65 Depth=1
                                        ;     Parent Loop BB2_101 Depth=2
                                        ;       Parent Loop BB2_103 Depth=3
                                        ; =>      This Inner Loop Header: Depth=4
	s_add_i32 s38, s38, 1
                                        ; implicit-def: $sgpr40
	s_delay_alu instid0(SALU_CYCLE_1) | instskip(SKIP_1) | instid1(SALU_CYCLE_1)
	s_cmpk_lg_i32 s38, 0x2710
	s_cselect_b32 s39, -1, 0
	s_and_b32 vcc_lo, exec_lo, s39
	s_cbranch_vccz .LBB2_223
.LBB2_220:                              ;   in Loop: Header=BB2_219 Depth=4
	s_and_not1_b32 s37, s37, exec_lo
	s_and_b32 s40, s40, exec_lo
	s_mov_b32 vcc_lo, -1
	s_or_b32 s37, s37, s40
	s_and_saveexec_b32 s40, s39
	s_cbranch_execz .LBB2_218
; %bb.221:                              ;   in Loop: Header=BB2_219 Depth=4
	s_sleep 1
	s_cbranch_execnz .LBB2_895
; %bb.222:                              ;   in Loop: Header=BB2_219 Depth=4
	ds_load_b64 v[54:55], v0
	s_and_not1_b32 s37, s37, exec_lo
	s_waitcnt lgkmcnt(0)
	v_cmp_ge_u64_e32 vcc_lo, v[54:55], v[10:11]
	s_or_not1_b32 vcc_lo, vcc_lo, exec_lo
	s_branch .LBB2_218
.LBB2_223:                              ;   in Loop: Header=BB2_219 Depth=4
	s_cbranch_execnz .LBB2_903
; %bb.224:                              ;   in Loop: Header=BB2_219 Depth=4
	ds_load_b64 v[54:55], v0
	s_and_not1_b32 s39, s39, exec_lo
	s_mov_b32 s38, 0
	s_mov_b32 s40, -1
	s_waitcnt lgkmcnt(0)
	flat_load_b32 v27, v[54:55] glc
	s_waitcnt vmcnt(0) lgkmcnt(0)
	buffer_gl1_inv
	buffer_gl0_inv
	v_cmp_eq_u32_e32 vcc_lo, 0, v27
	s_and_b32 vcc_lo, vcc_lo, exec_lo
	s_delay_alu instid0(SALU_CYCLE_1)
	s_or_b32 s39, s39, vcc_lo
	s_branch .LBB2_220
.LBB2_225:                              ;   in Loop: Header=BB2_103 Depth=3
	s_or_b32 exec_lo, exec_lo, s35
	s_and_saveexec_b32 vcc_lo, s36
	s_delay_alu instid0(SALU_CYCLE_1)
	s_xor_b32 vcc_lo, exec_lo, vcc_lo
	s_cbranch_execz .LBB2_227
; %bb.226:                              ;   in Loop: Header=BB2_103 Depth=3
	ds_store_b32 v0, v130
	s_cbranch_execnz .LBB2_967
.LBB2_227:                              ;   in Loop: Header=BB2_103 Depth=3
	s_or_b32 exec_lo, exec_lo, s34
	;;#ASMSTART
	s_wakeup
	;;#ASMEND
.LBB2_228:                              ;   in Loop: Header=BB2_103 Depth=3
	s_or_b32 exec_lo, exec_lo, s31
.LBB2_229:                              ;   in Loop: Header=BB2_103 Depth=3
	s_and_not1_saveexec_b32 s12, s12
	s_cbranch_execz .LBB2_231
; %bb.230:                              ;   in Loop: Header=BB2_103 Depth=3
	s_waitcnt lgkmcnt(0)
	s_waitcnt_vscnt null, 0x0
	buffer_gl1_inv
	buffer_gl0_inv
	s_barrier
.LBB2_231:                              ;   in Loop: Header=BB2_103 Depth=3
	s_or_b32 exec_lo, exec_lo, s12
.LBB2_232:                              ;   in Loop: Header=BB2_103 Depth=3
	s_delay_alu instid0(SALU_CYCLE_1) | instskip(SKIP_2) | instid1(VALU_DEP_2)
	s_or_b32 exec_lo, exec_lo, s11
	v_and_b32_e32 v27, 16, v98
	v_cmp_lt_i32_e32 vcc_lo, 0, v9
	v_cmp_ne_u32_e64 s11, 0, v27
	s_delay_alu instid0(VALU_DEP_1) | instskip(NEXT) | instid1(SALU_CYCLE_1)
	s_and_b32 s12, s11, vcc_lo
	s_and_saveexec_b32 s11, s12
	s_cbranch_execz .LBB2_234
; %bb.233:                              ;   in Loop: Header=BB2_103 Depth=3
	s_waitcnt lgkmcnt(0)
	s_waitcnt_vscnt null, 0x0
	buffer_gl1_inv
	buffer_gl0_inv
.LBB2_234:                              ;   in Loop: Header=BB2_103 Depth=3
	s_or_b32 exec_lo, exec_lo, s11
	s_delay_alu instid0(SALU_CYCLE_1)
	s_mov_b32 s11, exec_lo
	v_cmpx_ne_u32_e32 0, v27
	s_cbranch_execz .LBB2_238
; %bb.235:                              ;   in Loop: Header=BB2_103 Depth=3
	s_and_saveexec_b32 s12, s10
	s_cbranch_execz .LBB2_237
; %bb.236:                              ;   in Loop: Header=BB2_103 Depth=3
	s_waitcnt lgkmcnt(0)
	s_waitcnt_vscnt null, 0x0
	flat_store_b32 v[24:25], v130
.LBB2_237:                              ;   in Loop: Header=BB2_103 Depth=3
	s_or_b32 exec_lo, exec_lo, s12
	v_add_co_u32 v18, vcc_lo, v18, 2
	v_add_co_ci_u32_e32 v19, vcc_lo, 0, v19, vcc_lo
	s_waitcnt lgkmcnt(0)
	s_waitcnt_vscnt null, 0x0
	flat_store_b64 v[16:17], v[18:19]
.LBB2_238:                              ;   in Loop: Header=BB2_103 Depth=3
	s_or_b32 exec_lo, exec_lo, s11
	v_dual_mov_b32 v9, s30 :: v_dual_add_nc_u32 v66, v8, v66
	s_mov_b32 s30, 2
	s_delay_alu instid0(VALU_DEP_1) | instskip(SKIP_3) | instid1(SALU_CYCLE_1)
	v_cmp_ge_i32_e32 vcc_lo, v66, v68
	s_xor_b32 s11, vcc_hi, -1
	s_mov_b32 vcc_hi, 0
	s_or_b32 s11, s11, vcc_lo
	s_and_b32 s11, exec_lo, s11
	s_delay_alu instid0(SALU_CYCLE_1) | instskip(NEXT) | instid1(SALU_CYCLE_1)
	s_or_b32 s29, s11, s29
	s_and_not1_b32 exec_lo, exec_lo, s29
	s_cbranch_execnz .LBB2_103
; %bb.239:                              ;   in Loop: Header=BB2_101 Depth=2
	s_or_b32 exec_lo, exec_lo, s29
.LBB2_240:                              ;   in Loop: Header=BB2_101 Depth=2
	s_delay_alu instid0(SALU_CYCLE_1) | instskip(NEXT) | instid1(SALU_CYCLE_1)
	s_or_b32 exec_lo, exec_lo, s28
	s_mov_b32 s12, exec_lo
	v_cmpx_gt_i32_e32 2, v9
	s_cbranch_execz .LBB2_297
; %bb.241:                              ;   in Loop: Header=BB2_101 Depth=2
	v_cmp_eq_u32_e64 s11, 0, v9
	s_mov_b32 s28, 0
.LBB2_242:                              ;   Parent Loop BB2_65 Depth=1
                                        ;     Parent Loop BB2_101 Depth=2
                                        ; =>    This Loop Header: Depth=3
                                        ;         Child Loop BB2_248 Depth 4
                                        ;         Child Loop BB2_275 Depth 4
	v_and_b32_e32 v9, 8, v98
	s_mov_b32 vcc_hi, -1
	s_mov_b32 s29, exec_lo
	s_delay_alu instid0(VALU_DEP_1)
	v_cmpx_ne_u32_e32 0, v9
	s_cbranch_execz .LBB2_256
; %bb.243:                              ;   in Loop: Header=BB2_242 Depth=3
	v_add_co_u32 v64, vcc_lo, v22, 8
	v_add_co_ci_u32_e32 v65, vcc_lo, 0, v23, vcc_lo
	v_add_co_u32 v54, vcc_lo, v18, 2
	v_add_co_ci_u32_e32 v55, vcc_lo, 0, v19, vcc_lo
	v_mov_b32_e32 v9, 1
	s_mov_b32 vcc_hi, exec_lo
	s_delay_alu instid0(VALU_DEP_2)
	v_cmpx_lt_u64_e64 v[64:65], v[54:55]
	s_cbranch_execz .LBB2_255
; %bb.244:                              ;   in Loop: Header=BB2_242 Depth=3
	v_mov_b32_e32 v9, 0
	s_mov_b32 s30, 0
                                        ; implicit-def: $sgpr31
	s_branch .LBB2_248
.LBB2_245:                              ;   in Loop: Header=BB2_248 Depth=4
	s_or_b32 exec_lo, exec_lo, s37
	v_mov_b32_e32 v27, 0
	s_or_not1_b32 s36, s36, exec_lo
.LBB2_246:                              ;   in Loop: Header=BB2_248 Depth=4
	s_or_b32 exec_lo, exec_lo, s35
	s_delay_alu instid0(VALU_DEP_1) | instskip(SKIP_2) | instid1(SALU_CYCLE_1)
	v_mov_b32_e32 v9, v27
	s_and_not1_b32 vcc_lo, s31, exec_lo
	s_and_b32 s31, s36, exec_lo
	s_or_b32 s31, vcc_lo, s31
.LBB2_247:                              ;   in Loop: Header=BB2_248 Depth=4
	s_or_b32 exec_lo, exec_lo, s34
	s_waitcnt vmcnt(0) lgkmcnt(0)
	v_add_co_u32 v64, vcc_lo, v22, 8
	v_add_co_ci_u32_e32 v65, vcc_lo, 0, v23, vcc_lo
	s_xor_b32 s34, s31, -1
	s_delay_alu instid0(VALU_DEP_1) | instskip(SKIP_1) | instid1(SALU_CYCLE_1)
	v_cmp_ge_u64_e32 vcc_lo, v[64:65], v[54:55]
	s_or_b32 vcc_lo, s34, vcc_lo
	s_and_b32 vcc_lo, exec_lo, vcc_lo
	s_delay_alu instid0(SALU_CYCLE_1) | instskip(NEXT) | instid1(SALU_CYCLE_1)
	s_or_b32 s30, vcc_lo, s30
	s_and_not1_b32 exec_lo, exec_lo, s30
	s_cbranch_execz .LBB2_254
.LBB2_248:                              ;   Parent Loop BB2_65 Depth=1
                                        ;     Parent Loop BB2_101 Depth=2
                                        ;       Parent Loop BB2_242 Depth=3
                                        ; =>      This Inner Loop Header: Depth=4
	s_sleep 1
	flat_load_b64 v[22:23], v[16:17] glc
	v_and_b32_e32 v27, 64, v98
	s_and_not1_b32 s31, s31, exec_lo
	s_mov_b32 s34, exec_lo
	s_delay_alu instid0(VALU_DEP_1)
	v_cmpx_eq_u32_e32 0, v27
	s_cbranch_execz .LBB2_247
; %bb.249:                              ;   in Loop: Header=BB2_248 Depth=4
	v_add_nc_u32_e32 v27, 1, v9
	s_mov_b32 s36, -1
	s_mov_b32 s35, exec_lo
	v_cmpx_lt_i32_e32 0x270e, v9
	s_cbranch_execz .LBB2_246
; %bb.250:                              ;   in Loop: Header=BB2_248 Depth=4
	s_cbranch_execnz .LBB2_783
; %bb.251:                              ;   in Loop: Header=BB2_248 Depth=4
	ds_load_b64 v[64:65], v0
	s_mov_b32 s37, exec_lo
	s_waitcnt vmcnt(0) lgkmcnt(0)
	s_waitcnt_vscnt null, 0x0
	flat_load_b32 v9, v[64:65] glc
	s_waitcnt vmcnt(0) lgkmcnt(0)
	buffer_gl1_inv
	buffer_gl0_inv
	v_cmpx_ne_u32_e32 0, v9
	s_cbranch_execz .LBB2_245
; %bb.252:                              ;   in Loop: Header=BB2_248 Depth=4
	ds_store_b32 v0, v9
	s_cbranch_execnz .LBB2_801
; %bb.253:                              ;   in Loop: Header=BB2_248 Depth=4
	v_or_b32_e32 v98, 64, v98
	s_xor_b32 s36, exec_lo, -1
	s_branch .LBB2_245
.LBB2_254:                              ;   in Loop: Header=BB2_242 Depth=3
	s_or_b32 exec_lo, exec_lo, s30
	v_and_b32_e32 v9, 8, v98
.LBB2_255:                              ;   in Loop: Header=BB2_242 Depth=3
	s_or_b32 exec_lo, exec_lo, vcc_hi
	s_delay_alu instid0(VALU_DEP_1)
	v_cmp_eq_u32_e32 vcc_lo, 0, v9
	;;#ASMSTART
	s_wakeup
	;;#ASMEND
	s_or_not1_b32 vcc_hi, vcc_lo, exec_lo
.LBB2_256:                              ;   in Loop: Header=BB2_242 Depth=3
	s_or_b32 exec_lo, exec_lo, s29
	v_sub_nc_u32_e32 v9, v68, v66
	s_xor_b32 s11, s11, -1
	s_delay_alu instid0(SALU_CYCLE_1) | instskip(NEXT) | instid1(SALU_CYCLE_1)
	s_and_b32 s11, exec_lo, s11
	s_or_b32 s28, s11, s28
	s_delay_alu instid0(VALU_DEP_1) | instskip(SKIP_1) | instid1(SALU_CYCLE_1)
	v_min_i32_e32 v8, v8, v9
	s_xor_b32 s11, vcc_hi, -1
	s_and_saveexec_b32 s29, s11
	s_cbranch_execz .LBB2_266
; %bb.257:                              ;   in Loop: Header=BB2_242 Depth=3
	v_and_b32_e32 v9, 0x100, v98
	v_and_b32_e32 v27, 7, v18
	s_mov_b32 s11, -1
	s_mov_b32 vcc_hi, exec_lo
                                        ; implicit-def: $vgpr54_vgpr55
	s_delay_alu instid0(VALU_DEP_2)
	v_cmpx_ne_u32_e32 0, v9
	s_cbranch_execz .LBB2_261
; %bb.258:                              ;   in Loop: Header=BB2_242 Depth=3
	v_mad_u64_u32 v[64:65], null, v27, 24, v[4:5]
	v_ashrrev_i32_e32 v9, 31, v8
	flat_load_b32 v54, v[64:65]
	flat_store_b64 v[64:65], v[8:9] offset:8
	s_waitcnt vmcnt(0) lgkmcnt(1)
	v_cmp_ne_u32_e32 vcc_lo, 1, v54
	v_cmp_eq_u32_e64 s11, 1, v54
                                        ; implicit-def: $vgpr54_vgpr55
	s_delay_alu instid0(VALU_DEP_1)
	s_and_saveexec_b32 s30, s11
	s_cbranch_execz .LBB2_260
; %bb.259:                              ;   in Loop: Header=BB2_242 Depth=3
	flat_load_b32 v54, v[64:65] offset:4 glc
	s_waitcnt vmcnt(0) lgkmcnt(0)
	v_ashrrev_i32_e32 v55, 31, v54
.LBB2_260:                              ;   in Loop: Header=BB2_242 Depth=3
	s_or_b32 exec_lo, exec_lo, s30
	s_delay_alu instid0(SALU_CYCLE_1)
	s_or_not1_b32 s11, vcc_lo, exec_lo
.LBB2_261:                              ;   in Loop: Header=BB2_242 Depth=3
	s_or_b32 exec_lo, exec_lo, vcc_hi
	s_and_saveexec_b32 vcc_lo, s11
; %bb.262:                              ;   in Loop: Header=BB2_242 Depth=3
	v_mad_i64_i32 v[54:55], null, v27, v99, 0
; %bb.263:                              ;   in Loop: Header=BB2_242 Depth=3
	s_or_b32 exec_lo, exec_lo, vcc_lo
	s_delay_alu instid0(VALU_DEP_1) | instskip(SKIP_1) | instid1(VALU_DEP_3)
	v_add_co_u32 v54, vcc_lo, v20, v54
	v_and_b32_e32 v9, 0x2000, v98
	v_add_co_ci_u32_e32 v55, vcc_lo, v21, v55, vcc_lo
	s_mov_b32 s11, exec_lo
	ds_store_b64 v0, v[54:55] offset:784
	v_cmpx_ne_u32_e32 0, v9
	s_cbranch_execz .LBB2_265
; %bb.264:                              ;   in Loop: Header=BB2_242 Depth=3
	ds_load_b64 v[54:55], v0 offset:584
	s_waitcnt lgkmcnt(0)
	v_add_co_u32 v54, vcc_lo, v54, 1
	v_add_co_ci_u32_e32 v55, vcc_lo, 0, v55, vcc_lo
	ds_store_b64 v0, v[54:55] offset:584
.LBB2_265:                              ;   in Loop: Header=BB2_242 Depth=3
	s_or_b32 exec_lo, exec_lo, s11
	v_add_co_u32 v18, vcc_lo, v18, 2
	v_add_co_ci_u32_e32 v19, vcc_lo, 0, v19, vcc_lo
.LBB2_266:                              ;   in Loop: Header=BB2_242 Depth=3
	s_or_b32 exec_lo, exec_lo, s29
	s_and_saveexec_b32 s11, s4
	s_cbranch_execz .LBB2_288
; %bb.267:                              ;   in Loop: Header=BB2_242 Depth=3
	s_and_saveexec_b32 s29, s5
	s_delay_alu instid0(SALU_CYCLE_1)
	s_xor_b32 s29, exec_lo, s29
	s_cbranch_execz .LBB2_285
; %bb.268:                              ;   in Loop: Header=BB2_242 Depth=3
	s_and_saveexec_b32 vcc_hi, s2
	s_cbranch_execz .LBB2_284
; %bb.269:                              ;   in Loop: Header=BB2_242 Depth=3
	s_mov_b32 s31, exec_lo
	s_mov_b32 s30, exec_lo
	v_mbcnt_lo_u32_b32 v9, s31, 0
	s_waitcnt lgkmcnt(0)
	s_waitcnt_vscnt null, 0x0
	buffer_gl1_inv
	buffer_gl0_inv
	v_cmpx_eq_u32_e32 0, v9
	s_cbranch_execz .LBB2_271
; %bb.270:                              ;   in Loop: Header=BB2_242 Depth=3
	s_bcnt1_i32_b32 vcc_lo, s31
	s_delay_alu instid0(SALU_CYCLE_1)
	v_dual_mov_b32 v55, v26 :: v_dual_mov_b32 v54, vcc_lo
	ds_add_u64 v0, v[54:55]
	s_cbranch_execnz .LBB2_819
.LBB2_271:                              ;   in Loop: Header=BB2_242 Depth=3
	s_or_b32 exec_lo, exec_lo, s30
	s_cbranch_execnz .LBB2_807
; %bb.272:                              ;   in Loop: Header=BB2_242 Depth=3
	ds_load_b64 v[54:55], v0
	v_add_co_u32 v10, vcc_lo, v10, v101
	v_add_co_ci_u32_e32 v11, vcc_lo, 0, v11, vcc_lo
	s_mov_b32 s30, exec_lo
	s_waitcnt lgkmcnt(0)
	s_delay_alu instid0(VALU_DEP_1)
	v_cmpx_lt_u64_e64 v[54:55], v[10:11]
	s_cbranch_execz .LBB2_283
; %bb.273:                              ;   in Loop: Header=BB2_242 Depth=3
	s_mov_b32 s31, 0
	s_mov_b32 s36, 0
                                        ; implicit-def: $sgpr34
                                        ; implicit-def: $sgpr35
	s_branch .LBB2_275
.LBB2_274:                              ;   in Loop: Header=BB2_275 Depth=4
	s_or_b32 exec_lo, exec_lo, s38
	s_delay_alu instid0(SALU_CYCLE_1) | instskip(NEXT) | instid1(SALU_CYCLE_1)
	s_and_b32 vcc_lo, exec_lo, vcc_lo
	s_or_b32 s31, vcc_lo, s31
	s_and_not1_b32 vcc_lo, s34, exec_lo
	s_and_b32 s34, s35, exec_lo
	s_delay_alu instid0(SALU_CYCLE_1)
	s_or_b32 s34, vcc_lo, s34
	s_and_not1_b32 exec_lo, exec_lo, s31
	s_cbranch_execz .LBB2_281
.LBB2_275:                              ;   Parent Loop BB2_65 Depth=1
                                        ;     Parent Loop BB2_101 Depth=2
                                        ;       Parent Loop BB2_242 Depth=3
                                        ; =>      This Inner Loop Header: Depth=4
	s_add_i32 s36, s36, 1
                                        ; implicit-def: $sgpr38
	s_delay_alu instid0(SALU_CYCLE_1) | instskip(SKIP_1) | instid1(SALU_CYCLE_1)
	s_cmpk_lg_i32 s36, 0x2710
	s_cselect_b32 s37, -1, 0
	s_and_b32 vcc_lo, exec_lo, s37
	s_cbranch_vccz .LBB2_279
.LBB2_276:                              ;   in Loop: Header=BB2_275 Depth=4
	s_and_not1_b32 s35, s35, exec_lo
	s_and_b32 s38, s38, exec_lo
	s_mov_b32 vcc_lo, -1
	s_or_b32 s35, s35, s38
	s_and_saveexec_b32 s38, s37
	s_cbranch_execz .LBB2_274
; %bb.277:                              ;   in Loop: Header=BB2_275 Depth=4
	s_sleep 1
	s_cbranch_execnz .LBB2_835
; %bb.278:                              ;   in Loop: Header=BB2_275 Depth=4
	ds_load_b64 v[54:55], v0
	s_and_not1_b32 s35, s35, exec_lo
	s_waitcnt lgkmcnt(0)
	v_cmp_ge_u64_e32 vcc_lo, v[54:55], v[10:11]
	s_or_not1_b32 vcc_lo, vcc_lo, exec_lo
	s_branch .LBB2_274
.LBB2_279:                              ;   in Loop: Header=BB2_275 Depth=4
	s_cbranch_execnz .LBB2_843
; %bb.280:                              ;   in Loop: Header=BB2_275 Depth=4
	ds_load_b64 v[54:55], v0
	s_and_not1_b32 s37, s37, exec_lo
	s_mov_b32 s36, 0
	s_mov_b32 s38, -1
	s_waitcnt lgkmcnt(0)
	flat_load_b32 v9, v[54:55] glc
	s_waitcnt vmcnt(0) lgkmcnt(0)
	buffer_gl1_inv
	buffer_gl0_inv
	v_cmp_eq_u32_e32 vcc_lo, 0, v9
	s_and_b32 vcc_lo, vcc_lo, exec_lo
	s_delay_alu instid0(SALU_CYCLE_1)
	s_or_b32 s37, s37, vcc_lo
	s_branch .LBB2_276
.LBB2_281:                              ;   in Loop: Header=BB2_242 Depth=3
	s_or_b32 exec_lo, exec_lo, s31
	s_and_saveexec_b32 vcc_lo, s34
	s_delay_alu instid0(SALU_CYCLE_1)
	s_xor_b32 vcc_lo, exec_lo, vcc_lo
	s_cbranch_execz .LBB2_283
; %bb.282:                              ;   in Loop: Header=BB2_242 Depth=3
	ds_store_b32 v0, v130
	s_cbranch_execnz .LBB2_957
.LBB2_283:                              ;   in Loop: Header=BB2_242 Depth=3
	s_or_b32 exec_lo, exec_lo, s30
	;;#ASMSTART
	s_wakeup
	;;#ASMEND
.LBB2_284:                              ;   in Loop: Header=BB2_242 Depth=3
	s_or_b32 exec_lo, exec_lo, vcc_hi
.LBB2_285:                              ;   in Loop: Header=BB2_242 Depth=3
	s_and_not1_saveexec_b32 s29, s29
	s_cbranch_execz .LBB2_287
; %bb.286:                              ;   in Loop: Header=BB2_242 Depth=3
	s_waitcnt lgkmcnt(0)
	s_waitcnt_vscnt null, 0x0
	buffer_gl1_inv
	buffer_gl0_inv
	s_barrier
.LBB2_287:                              ;   in Loop: Header=BB2_242 Depth=3
	s_or_b32 exec_lo, exec_lo, s29
.LBB2_288:                              ;   in Loop: Header=BB2_242 Depth=3
	s_delay_alu instid0(SALU_CYCLE_1)
	s_or_b32 exec_lo, exec_lo, s11
	s_cbranch_execnz .LBB2_766
; %bb.289:                              ;   in Loop: Header=BB2_242 Depth=3
	ds_load_b32 v9, v0
	v_cmp_lt_i32_e32 vcc_lo, 0, v8
	s_waitcnt lgkmcnt(0)
	v_readfirstlane_b32 s11, v9
	v_and_b32_e32 v9, 16, v98
	s_delay_alu instid0(VALU_DEP_2) | instskip(NEXT) | instid1(VALU_DEP_1)
	s_cmp_eq_u32 s11, 0
	v_cmp_ne_u32_e64 s11, 0, v9
	s_cselect_b32 s29, -1, 0
	s_delay_alu instid0(SALU_CYCLE_1)
	s_and_b32 s29, vcc_lo, s29
	s_delay_alu instid0(VALU_DEP_1) | instid1(SALU_CYCLE_1)
	s_and_b32 s29, s11, s29
	s_delay_alu instid0(SALU_CYCLE_1)
	s_and_saveexec_b32 s11, s29
	s_cbranch_execz .LBB2_291
; %bb.290:                              ;   in Loop: Header=BB2_242 Depth=3
	s_waitcnt_vscnt null, 0x0
	buffer_gl1_inv
	buffer_gl0_inv
.LBB2_291:                              ;   in Loop: Header=BB2_242 Depth=3
	s_or_b32 exec_lo, exec_lo, s11
	s_delay_alu instid0(SALU_CYCLE_1)
	s_mov_b32 s11, exec_lo
	v_cmpx_ne_u32_e32 0, v9
	s_cbranch_execz .LBB2_295
; %bb.292:                              ;   in Loop: Header=BB2_242 Depth=3
	s_and_saveexec_b32 s29, s10
	s_cbranch_execz .LBB2_294
; %bb.293:                              ;   in Loop: Header=BB2_242 Depth=3
	s_waitcnt_vscnt null, 0x0
	flat_store_b32 v[24:25], v130
.LBB2_294:                              ;   in Loop: Header=BB2_242 Depth=3
	s_or_b32 exec_lo, exec_lo, s29
	v_add_co_u32 v18, vcc_lo, v18, 2
	v_add_co_ci_u32_e32 v19, vcc_lo, 0, v19, vcc_lo
	s_waitcnt lgkmcnt(0)
	s_waitcnt_vscnt null, 0x0
	flat_store_b64 v[16:17], v[18:19]
.LBB2_295:                              ;   in Loop: Header=BB2_242 Depth=3
	s_or_b32 exec_lo, exec_lo, s11
	v_add_nc_u32_e32 v66, v8, v66
	s_mov_b32 s11, 0
	s_and_not1_b32 exec_lo, exec_lo, s28
	s_cbranch_execnz .LBB2_242
; %bb.296:                              ;   in Loop: Header=BB2_101 Depth=2
	s_or_b32 exec_lo, exec_lo, s28
.LBB2_297:                              ;   in Loop: Header=BB2_101 Depth=2
	s_delay_alu instid0(SALU_CYCLE_1) | instskip(NEXT) | instid1(SALU_CYCLE_1)
	s_or_b32 exec_lo, exec_lo, s12
	s_and_not1_b32 vcc_lo, exec_lo, s26
	s_cbranch_vccnz .LBB2_505
; %bb.298:                              ;   in Loop: Header=BB2_101 Depth=2
	s_mov_b32 s28, 0
.LBB2_299:                              ;   Parent Loop BB2_65 Depth=1
                                        ;     Parent Loop BB2_101 Depth=2
                                        ; =>    This Loop Header: Depth=3
                                        ;         Child Loop BB2_301 Depth 4
                                        ;           Child Loop BB2_309 Depth 5
                                        ;           Child Loop BB2_341 Depth 5
                                        ;           Child Loop BB2_364 Depth 5
                                        ;           Child Loop BB2_387 Depth 5
                                        ;           Child Loop BB2_393 Depth 5
                                        ;           Child Loop BB2_403 Depth 5
                                        ;           Child Loop BB2_409 Depth 5
                                        ;           Child Loop BB2_421 Depth 5
                                        ;         Child Loop BB2_444 Depth 4
                                        ;           Child Loop BB2_450 Depth 5
                                        ;           Child Loop BB2_482 Depth 5
	v_dual_mov_b32 v9, 0 :: v_dual_mov_b32 v8, v69
	v_mov_b32_e32 v70, 0
	s_and_saveexec_b32 s29, s27
	s_cbranch_execz .LBB2_442
; %bb.300:                              ;   in Loop: Header=BB2_299 Depth=3
	v_mov_b32_e32 v70, 0
	v_mov_b32_e32 v8, v69
	s_mov_b32 s31, 1
	s_mov_b32 s30, -1
	s_mov_b32 vcc_hi, 0
.LBB2_301:                              ;   Parent Loop BB2_65 Depth=1
                                        ;     Parent Loop BB2_101 Depth=2
                                        ;       Parent Loop BB2_299 Depth=3
                                        ; =>      This Loop Header: Depth=4
                                        ;           Child Loop BB2_309 Depth 5
                                        ;           Child Loop BB2_341 Depth 5
	;; [unrolled: 1-line block ×8, first 2 shown]
	s_and_saveexec_b32 s11, s0
	s_cbranch_execz .LBB2_303
; %bb.302:                              ;   in Loop: Header=BB2_301 Depth=4
	v_mov_b32_e32 v27, v26
	ds_store_b64 v0, v[26:27]
	s_cbranch_execnz .LBB2_789
.LBB2_303:                              ;   in Loop: Header=BB2_301 Depth=4
	s_or_b32 exec_lo, exec_lo, s11
	v_and_b32_e32 v9, 12, v98
	s_mov_b32 s12, -1
	s_mov_b32 s11, exec_lo
	s_delay_alu instid0(VALU_DEP_1)
	v_cmpx_ne_u32_e32 0, v9
	s_cbranch_execz .LBB2_317
; %bb.304:                              ;   in Loop: Header=BB2_301 Depth=4
	v_and_b32_e32 v9, 8, v98
	v_mov_b32_e32 v27, 1
	s_mov_b32 s12, exec_lo
	s_delay_alu instid0(VALU_DEP_2) | instskip(SKIP_3) | instid1(VALU_DEP_1)
	v_add_co_u32 v64, vcc_lo, v22, v9
	v_add_co_ci_u32_e32 v65, vcc_lo, 0, v23, vcc_lo
	v_add_co_u32 v54, vcc_lo, v18, 2
	v_add_co_ci_u32_e32 v55, vcc_lo, 0, v19, vcc_lo
	v_cmpx_lt_u64_e64 v[64:65], v[54:55]
	s_cbranch_execz .LBB2_316
; %bb.305:                              ;   in Loop: Header=BB2_301 Depth=4
	v_mov_b32_e32 v27, 0
	s_mov_b32 s34, 0
                                        ; implicit-def: $sgpr35
	s_branch .LBB2_309
.LBB2_306:                              ;   in Loop: Header=BB2_309 Depth=5
	s_or_b32 exec_lo, exec_lo, s39
	v_mov_b32_e32 v64, 0
	s_or_not1_b32 s38, s38, exec_lo
.LBB2_307:                              ;   in Loop: Header=BB2_309 Depth=5
	s_or_b32 exec_lo, exec_lo, s37
	s_delay_alu instid0(VALU_DEP_1) | instskip(SKIP_2) | instid1(SALU_CYCLE_1)
	v_mov_b32_e32 v27, v64
	s_and_not1_b32 vcc_lo, s35, exec_lo
	s_and_b32 s35, s38, exec_lo
	s_or_b32 s35, vcc_lo, s35
.LBB2_308:                              ;   in Loop: Header=BB2_309 Depth=5
	s_or_b32 exec_lo, exec_lo, s36
	s_waitcnt vmcnt(0) lgkmcnt(0)
	v_add_co_u32 v64, vcc_lo, v22, v9
	v_add_co_ci_u32_e32 v65, vcc_lo, 0, v23, vcc_lo
	s_xor_b32 s36, s35, -1
	s_delay_alu instid0(VALU_DEP_1) | instskip(SKIP_1) | instid1(SALU_CYCLE_1)
	v_cmp_ge_u64_e32 vcc_lo, v[64:65], v[54:55]
	s_or_b32 vcc_lo, s36, vcc_lo
	s_and_b32 vcc_lo, exec_lo, vcc_lo
	s_delay_alu instid0(SALU_CYCLE_1) | instskip(NEXT) | instid1(SALU_CYCLE_1)
	s_or_b32 s34, vcc_lo, s34
	s_and_not1_b32 exec_lo, exec_lo, s34
	s_cbranch_execz .LBB2_315
.LBB2_309:                              ;   Parent Loop BB2_65 Depth=1
                                        ;     Parent Loop BB2_101 Depth=2
                                        ;       Parent Loop BB2_299 Depth=3
                                        ;         Parent Loop BB2_301 Depth=4
                                        ; =>        This Inner Loop Header: Depth=5
	s_sleep 1
	flat_load_b64 v[22:23], v[16:17] glc
	v_and_b32_e32 v64, 64, v98
	s_and_not1_b32 s35, s35, exec_lo
	s_mov_b32 s36, exec_lo
	s_delay_alu instid0(VALU_DEP_1)
	v_cmpx_eq_u32_e32 0, v64
	s_cbranch_execz .LBB2_308
; %bb.310:                              ;   in Loop: Header=BB2_309 Depth=5
	v_add_nc_u32_e32 v64, 1, v27
	s_mov_b32 s38, -1
	s_mov_b32 s37, exec_lo
	v_cmpx_lt_i32_e32 0x270e, v27
	s_cbranch_execz .LBB2_307
; %bb.311:                              ;   in Loop: Header=BB2_309 Depth=5
	s_cbranch_execnz .LBB2_811
; %bb.312:                              ;   in Loop: Header=BB2_309 Depth=5
	ds_load_b64 v[64:65], v0
	s_mov_b32 s39, exec_lo
	s_waitcnt vmcnt(0) lgkmcnt(0)
	s_waitcnt_vscnt null, 0x0
	flat_load_b32 v27, v[64:65] glc
	s_waitcnt vmcnt(0) lgkmcnt(0)
	buffer_gl1_inv
	buffer_gl0_inv
	v_cmpx_ne_u32_e32 0, v27
	s_cbranch_execz .LBB2_306
; %bb.313:                              ;   in Loop: Header=BB2_309 Depth=5
	ds_store_b32 v0, v27
	s_cbranch_execnz .LBB2_845
; %bb.314:                              ;   in Loop: Header=BB2_309 Depth=5
	v_or_b32_e32 v98, 64, v98
	s_xor_b32 s38, exec_lo, -1
	s_branch .LBB2_306
.LBB2_315:                              ;   in Loop: Header=BB2_301 Depth=4
	s_or_b32 exec_lo, exec_lo, s34
	v_and_b32_e32 v27, 12, v98
.LBB2_316:                              ;   in Loop: Header=BB2_301 Depth=4
	s_or_b32 exec_lo, exec_lo, s12
	s_delay_alu instid0(VALU_DEP_1)
	v_cmp_eq_u32_e32 vcc_lo, 0, v27
	;;#ASMSTART
	s_wakeup
	;;#ASMEND
	s_or_not1_b32 s12, vcc_lo, exec_lo
.LBB2_317:                              ;   in Loop: Header=BB2_301 Depth=4
	s_or_b32 exec_lo, exec_lo, s11
	v_sub_nc_u32_e32 v9, v68, v70
	s_xor_b32 s11, s12, -1
	s_delay_alu instid0(VALU_DEP_1)
	v_min_i32_e32 v8, v8, v9
	s_and_saveexec_b32 s12, s11
	s_cbranch_execz .LBB2_332
; %bb.318:                              ;   in Loop: Header=BB2_301 Depth=4
	v_and_b32_e32 v9, 0x108, v98
	s_mov_b32 s11, exec_lo
                                        ; implicit-def: $vgpr54_vgpr55
	s_delay_alu instid0(VALU_DEP_1)
	v_cmpx_ne_u32_e32 0x108, v9
	s_xor_b32 s11, exec_lo, s11
; %bb.319:                              ;   in Loop: Header=BB2_301 Depth=4
	v_dual_mov_b32 v55, v26 :: v_dual_and_b32 v54, 7, v18
; %bb.320:                              ;   in Loop: Header=BB2_301 Depth=4
	s_and_not1_saveexec_b32 s11, s11
	s_cbranch_execz .LBB2_322
; %bb.321:                              ;   in Loop: Header=BB2_301 Depth=4
	v_dual_mov_b32 v55, v26 :: v_dual_and_b32 v54, 7, v18
	v_ashrrev_i32_e32 v9, 31, v8
	s_delay_alu instid0(VALU_DEP_2)
	v_mad_u64_u32 v[64:65], null, v54, 24, v[4:5]
	flat_store_b64 v[64:65], v[8:9] offset:8
.LBB2_322:                              ;   in Loop: Header=BB2_301 Depth=4
	s_or_b32 exec_lo, exec_lo, s11
	v_and_b32_e32 v9, 0x100, v98
	s_mov_b32 s11, -1
	s_mov_b32 s34, exec_lo
                                        ; implicit-def: $vgpr64_vgpr65
	s_delay_alu instid0(VALU_DEP_1)
	v_cmpx_ne_u32_e32 0, v9
	s_cbranch_execnz .LBB2_325
; %bb.323:                              ;   in Loop: Header=BB2_301 Depth=4
	s_or_b32 exec_lo, exec_lo, s34
	s_and_saveexec_b32 vcc_lo, s11
	s_cbranch_execnz .LBB2_328
.LBB2_324:                              ;   in Loop: Header=BB2_301 Depth=4
	s_or_b32 exec_lo, exec_lo, vcc_lo
	s_cbranch_execnz .LBB2_809
	s_branch .LBB2_329
.LBB2_325:                              ;   in Loop: Header=BB2_301 Depth=4
	v_mad_u64_u32 v[66:67], null, v54, 24, v[4:5]
	s_mov_b32 s35, exec_lo
	s_delay_alu instid0(VALU_DEP_1) | instskip(NEXT) | instid1(VALU_DEP_1)
	v_mov_b32_e32 v9, v67
	v_mad_u64_u32 v[64:65], null, v55, 24, v[9:10]
	s_delay_alu instid0(VALU_DEP_1)
	v_mov_b32_e32 v67, v64
                                        ; implicit-def: $vgpr64_vgpr65
	flat_load_b32 v9, v[66:67]
	s_waitcnt vmcnt(0) lgkmcnt(0)
	v_cmp_ne_u32_e32 vcc_lo, 1, v9
	v_cmpx_eq_u32_e32 1, v9
	s_cbranch_execz .LBB2_327
; %bb.326:                              ;   in Loop: Header=BB2_301 Depth=4
	flat_load_b32 v64, v[66:67] offset:4 glc
	s_waitcnt vmcnt(0) lgkmcnt(0)
	v_ashrrev_i32_e32 v65, 31, v64
.LBB2_327:                              ;   in Loop: Header=BB2_301 Depth=4
	s_or_b32 exec_lo, exec_lo, s35
	s_delay_alu instid0(SALU_CYCLE_1)
	s_or_not1_b32 s11, vcc_lo, exec_lo
	s_or_b32 exec_lo, exec_lo, s34
	s_and_saveexec_b32 vcc_lo, s11
	s_cbranch_execz .LBB2_324
.LBB2_328:                              ;   in Loop: Header=BB2_301 Depth=4
	v_mul_lo_u32 v9, v55, v99
	v_mul_lo_u32 v27, v54, v119
	v_mad_u64_u32 v[64:65], null, v54, v99, 0
	s_delay_alu instid0(VALU_DEP_1)
	v_add3_u32 v65, v65, v27, v9
	s_or_b32 exec_lo, exec_lo, vcc_lo
	s_cbranch_execnz .LBB2_809
.LBB2_329:                              ;   in Loop: Header=BB2_301 Depth=4
	s_delay_alu instid0(VALU_DEP_2)
	v_add_co_u32 v54, vcc_lo, v20, v64
	v_and_b32_e32 v9, 0x2000, v98
	v_add_co_ci_u32_e32 v55, vcc_lo, v21, v65, vcc_lo
	s_mov_b32 s11, exec_lo
	ds_store_b64 v0, v[54:55]
	v_cmpx_ne_u32_e32 0, v9
	s_cbranch_execz .LBB2_331
; %bb.330:                              ;   in Loop: Header=BB2_301 Depth=4
	ds_load_b64 v[54:55], v0 offset:584
	s_waitcnt lgkmcnt(0)
	v_add_co_u32 v54, vcc_lo, v54, 1
	v_add_co_ci_u32_e32 v55, vcc_lo, 0, v55, vcc_lo
	ds_store_b64 v0, v[54:55] offset:584
.LBB2_331:                              ;   in Loop: Header=BB2_301 Depth=4
	s_or_b32 exec_lo, exec_lo, s11
	v_add_co_u32 v18, vcc_lo, v18, 2
	v_add_co_ci_u32_e32 v19, vcc_lo, 0, v19, vcc_lo
.LBB2_332:                              ;   in Loop: Header=BB2_301 Depth=4
	s_or_b32 exec_lo, exec_lo, s12
	s_and_saveexec_b32 s11, s4
	s_cbranch_execz .LBB2_354
; %bb.333:                              ;   in Loop: Header=BB2_301 Depth=4
	s_and_saveexec_b32 s12, s5
	s_delay_alu instid0(SALU_CYCLE_1)
	s_xor_b32 s12, exec_lo, s12
	s_cbranch_execz .LBB2_351
; %bb.334:                              ;   in Loop: Header=BB2_301 Depth=4
	s_and_saveexec_b32 s34, s2
	s_cbranch_execz .LBB2_350
; %bb.335:                              ;   in Loop: Header=BB2_301 Depth=4
	s_mov_b32 s36, exec_lo
	s_mov_b32 s35, exec_lo
	v_mbcnt_lo_u32_b32 v9, s36, 0
	s_waitcnt lgkmcnt(0)
	s_waitcnt_vscnt null, 0x0
	buffer_gl1_inv
	buffer_gl0_inv
	v_cmpx_eq_u32_e32 0, v9
	s_cbranch_execz .LBB2_337
; %bb.336:                              ;   in Loop: Header=BB2_301 Depth=4
	s_bcnt1_i32_b32 vcc_lo, s36
	s_delay_alu instid0(SALU_CYCLE_1)
	v_dual_mov_b32 v55, v26 :: v_dual_mov_b32 v54, vcc_lo
	ds_add_u64 v0, v[54:55]
	s_cbranch_execnz .LBB2_883
.LBB2_337:                              ;   in Loop: Header=BB2_301 Depth=4
	s_or_b32 exec_lo, exec_lo, s35
	s_cbranch_execnz .LBB2_867
; %bb.338:                              ;   in Loop: Header=BB2_301 Depth=4
	ds_load_b64 v[54:55], v0
	v_add_co_u32 v10, vcc_lo, v10, v101
	v_add_co_ci_u32_e32 v11, vcc_lo, 0, v11, vcc_lo
	s_mov_b32 s35, exec_lo
	s_waitcnt lgkmcnt(0)
	s_delay_alu instid0(VALU_DEP_1)
	v_cmpx_lt_u64_e64 v[54:55], v[10:11]
	s_cbranch_execz .LBB2_349
; %bb.339:                              ;   in Loop: Header=BB2_301 Depth=4
	s_mov_b32 s36, 0
	s_mov_b32 s39, 0
                                        ; implicit-def: $sgpr37
                                        ; implicit-def: $sgpr38
	s_branch .LBB2_341
.LBB2_340:                              ;   in Loop: Header=BB2_341 Depth=5
	s_or_b32 exec_lo, exec_lo, s41
	s_delay_alu instid0(SALU_CYCLE_1) | instskip(NEXT) | instid1(SALU_CYCLE_1)
	s_and_b32 vcc_lo, exec_lo, vcc_lo
	s_or_b32 s36, vcc_lo, s36
	s_and_not1_b32 vcc_lo, s37, exec_lo
	s_and_b32 s37, s38, exec_lo
	s_delay_alu instid0(SALU_CYCLE_1)
	s_or_b32 s37, vcc_lo, s37
	s_and_not1_b32 exec_lo, exec_lo, s36
	s_cbranch_execz .LBB2_347
.LBB2_341:                              ;   Parent Loop BB2_65 Depth=1
                                        ;     Parent Loop BB2_101 Depth=2
                                        ;       Parent Loop BB2_299 Depth=3
                                        ;         Parent Loop BB2_301 Depth=4
                                        ; =>        This Inner Loop Header: Depth=5
	s_add_i32 s39, s39, 1
                                        ; implicit-def: $sgpr41
	s_delay_alu instid0(SALU_CYCLE_1) | instskip(SKIP_1) | instid1(SALU_CYCLE_1)
	s_cmpk_lg_i32 s39, 0x2710
	s_cselect_b32 s40, -1, 0
	s_and_b32 vcc_lo, exec_lo, s40
	s_cbranch_vccz .LBB2_345
.LBB2_342:                              ;   in Loop: Header=BB2_341 Depth=5
	s_and_not1_b32 s38, s38, exec_lo
	s_and_b32 s41, s41, exec_lo
	s_mov_b32 vcc_lo, -1
	s_or_b32 s38, s38, s41
	s_and_saveexec_b32 s41, s40
	s_cbranch_execz .LBB2_340
; %bb.343:                              ;   in Loop: Header=BB2_341 Depth=5
	s_sleep 1
	s_cbranch_execnz .LBB2_907
; %bb.344:                              ;   in Loop: Header=BB2_341 Depth=5
	ds_load_b64 v[54:55], v0
	s_and_not1_b32 s38, s38, exec_lo
	s_waitcnt lgkmcnt(0)
	v_cmp_ge_u64_e32 vcc_lo, v[54:55], v[10:11]
	s_or_not1_b32 vcc_lo, vcc_lo, exec_lo
	s_branch .LBB2_340
.LBB2_345:                              ;   in Loop: Header=BB2_341 Depth=5
	s_cbranch_execnz .LBB2_919
; %bb.346:                              ;   in Loop: Header=BB2_341 Depth=5
	ds_load_b64 v[54:55], v0
	s_and_not1_b32 s40, s40, exec_lo
	s_mov_b32 s39, 0
	s_mov_b32 s41, -1
	s_waitcnt lgkmcnt(0)
	flat_load_b32 v9, v[54:55] glc
	s_waitcnt vmcnt(0) lgkmcnt(0)
	buffer_gl1_inv
	buffer_gl0_inv
	v_cmp_eq_u32_e32 vcc_lo, 0, v9
	s_and_b32 vcc_lo, vcc_lo, exec_lo
	s_delay_alu instid0(SALU_CYCLE_1)
	s_or_b32 s40, s40, vcc_lo
	s_branch .LBB2_342
.LBB2_347:                              ;   in Loop: Header=BB2_301 Depth=4
	s_or_b32 exec_lo, exec_lo, s36
	s_and_saveexec_b32 vcc_lo, s37
	s_delay_alu instid0(SALU_CYCLE_1)
	s_xor_b32 vcc_lo, exec_lo, vcc_lo
	s_cbranch_execz .LBB2_349
; %bb.348:                              ;   in Loop: Header=BB2_301 Depth=4
	ds_store_b32 v0, v130
	s_cbranch_execnz .LBB2_971
.LBB2_349:                              ;   in Loop: Header=BB2_301 Depth=4
	s_or_b32 exec_lo, exec_lo, s35
	;;#ASMSTART
	s_wakeup
	;;#ASMEND
.LBB2_350:                              ;   in Loop: Header=BB2_301 Depth=4
	s_or_b32 exec_lo, exec_lo, s34
.LBB2_351:                              ;   in Loop: Header=BB2_301 Depth=4
	s_and_not1_saveexec_b32 s12, s12
	s_cbranch_execz .LBB2_353
; %bb.352:                              ;   in Loop: Header=BB2_301 Depth=4
	s_waitcnt lgkmcnt(0)
	s_waitcnt_vscnt null, 0x0
	buffer_gl1_inv
	buffer_gl0_inv
	s_barrier
.LBB2_353:                              ;   in Loop: Header=BB2_301 Depth=4
	s_or_b32 exec_lo, exec_lo, s12
.LBB2_354:                              ;   in Loop: Header=BB2_301 Depth=4
	s_delay_alu instid0(SALU_CYCLE_1)
	s_or_b32 exec_lo, exec_lo, s11
	s_cbranch_execnz .LBB2_793
; %bb.355:                              ;   in Loop: Header=BB2_301 Depth=4
	ds_load_b32 v27, v0
	v_and_b32_e32 v9, 0x4000, v98
	s_xor_b32 s11, s3, -1
	s_delay_alu instid0(VALU_DEP_1) | instskip(SKIP_1) | instid1(SALU_CYCLE_1)
	v_cmp_ne_u32_e32 vcc_lo, 0, v9
	s_and_b32 s12, s11, vcc_lo
	s_and_saveexec_b32 s11, s12
	s_cbranch_execz .LBB2_377
; %bb.356:                              ;   in Loop: Header=BB2_301 Depth=4
	s_and_saveexec_b32 s12, s5
	s_delay_alu instid0(SALU_CYCLE_1)
	s_xor_b32 s12, exec_lo, s12
	s_cbranch_execz .LBB2_374
; %bb.357:                              ;   in Loop: Header=BB2_301 Depth=4
	s_and_saveexec_b32 s34, s2
	s_cbranch_execz .LBB2_373
; %bb.358:                              ;   in Loop: Header=BB2_301 Depth=4
	s_mov_b32 s36, exec_lo
	s_mov_b32 s35, exec_lo
	v_mbcnt_lo_u32_b32 v9, s36, 0
	s_waitcnt lgkmcnt(0)
	s_waitcnt_vscnt null, 0x0
	buffer_gl1_inv
	buffer_gl0_inv
	v_cmpx_eq_u32_e32 0, v9
	s_cbranch_execz .LBB2_360
; %bb.359:                              ;   in Loop: Header=BB2_301 Depth=4
	s_bcnt1_i32_b32 vcc_lo, s36
	s_delay_alu instid0(SALU_CYCLE_1)
	v_dual_mov_b32 v55, v26 :: v_dual_mov_b32 v54, vcc_lo
	ds_add_u64 v0, v[54:55]
	s_cbranch_execnz .LBB2_901
.LBB2_360:                              ;   in Loop: Header=BB2_301 Depth=4
	s_or_b32 exec_lo, exec_lo, s35
	s_cbranch_execnz .LBB2_893
; %bb.361:                              ;   in Loop: Header=BB2_301 Depth=4
	ds_load_b64 v[54:55], v0
	v_add_co_u32 v10, vcc_lo, v10, v101
	v_add_co_ci_u32_e32 v11, vcc_lo, 0, v11, vcc_lo
	s_mov_b32 s35, exec_lo
	s_waitcnt lgkmcnt(0)
	s_delay_alu instid0(VALU_DEP_1)
	v_cmpx_lt_u64_e64 v[54:55], v[10:11]
	s_cbranch_execz .LBB2_372
; %bb.362:                              ;   in Loop: Header=BB2_301 Depth=4
	s_mov_b32 s36, 0
	s_mov_b32 s39, 0
                                        ; implicit-def: $sgpr37
                                        ; implicit-def: $sgpr38
	s_branch .LBB2_364
.LBB2_363:                              ;   in Loop: Header=BB2_364 Depth=5
	s_or_b32 exec_lo, exec_lo, s41
	s_delay_alu instid0(SALU_CYCLE_1) | instskip(NEXT) | instid1(SALU_CYCLE_1)
	s_and_b32 vcc_lo, exec_lo, vcc_lo
	s_or_b32 s36, vcc_lo, s36
	s_and_not1_b32 vcc_lo, s37, exec_lo
	s_and_b32 s37, s38, exec_lo
	s_delay_alu instid0(SALU_CYCLE_1)
	s_or_b32 s37, vcc_lo, s37
	s_and_not1_b32 exec_lo, exec_lo, s36
	s_cbranch_execz .LBB2_370
.LBB2_364:                              ;   Parent Loop BB2_65 Depth=1
                                        ;     Parent Loop BB2_101 Depth=2
                                        ;       Parent Loop BB2_299 Depth=3
                                        ;         Parent Loop BB2_301 Depth=4
                                        ; =>        This Inner Loop Header: Depth=5
	s_add_i32 s39, s39, 1
                                        ; implicit-def: $sgpr41
	s_delay_alu instid0(SALU_CYCLE_1) | instskip(SKIP_1) | instid1(SALU_CYCLE_1)
	s_cmpk_lg_i32 s39, 0x2710
	s_cselect_b32 s40, -1, 0
	s_and_b32 vcc_lo, exec_lo, s40
	s_cbranch_vccz .LBB2_368
.LBB2_365:                              ;   in Loop: Header=BB2_364 Depth=5
	s_and_not1_b32 s38, s38, exec_lo
	s_and_b32 s41, s41, exec_lo
	s_mov_b32 vcc_lo, -1
	s_or_b32 s38, s38, s41
	s_and_saveexec_b32 s41, s40
	s_cbranch_execz .LBB2_363
; %bb.366:                              ;   in Loop: Header=BB2_364 Depth=5
	s_sleep 1
	s_cbranch_execnz .LBB2_937
; %bb.367:                              ;   in Loop: Header=BB2_364 Depth=5
	ds_load_b64 v[54:55], v0
	s_and_not1_b32 s38, s38, exec_lo
	s_waitcnt lgkmcnt(0)
	v_cmp_ge_u64_e32 vcc_lo, v[54:55], v[10:11]
	s_or_not1_b32 vcc_lo, vcc_lo, exec_lo
	s_branch .LBB2_363
.LBB2_368:                              ;   in Loop: Header=BB2_364 Depth=5
	s_cbranch_execnz .LBB2_943
; %bb.369:                              ;   in Loop: Header=BB2_364 Depth=5
	ds_load_b64 v[54:55], v0
	s_and_not1_b32 s40, s40, exec_lo
	s_mov_b32 s39, 0
	s_mov_b32 s41, -1
	s_waitcnt lgkmcnt(0)
	flat_load_b32 v9, v[54:55] glc
	s_waitcnt vmcnt(0) lgkmcnt(0)
	buffer_gl1_inv
	buffer_gl0_inv
	v_cmp_eq_u32_e32 vcc_lo, 0, v9
	s_and_b32 vcc_lo, vcc_lo, exec_lo
	s_delay_alu instid0(SALU_CYCLE_1)
	s_or_b32 s40, s40, vcc_lo
	s_branch .LBB2_365
.LBB2_370:                              ;   in Loop: Header=BB2_301 Depth=4
	s_or_b32 exec_lo, exec_lo, s36
	s_and_saveexec_b32 vcc_lo, s37
	s_delay_alu instid0(SALU_CYCLE_1)
	s_xor_b32 vcc_lo, exec_lo, vcc_lo
	s_cbranch_execz .LBB2_372
; %bb.371:                              ;   in Loop: Header=BB2_301 Depth=4
	ds_store_b32 v0, v130
	s_cbranch_execnz .LBB2_979
.LBB2_372:                              ;   in Loop: Header=BB2_301 Depth=4
	s_or_b32 exec_lo, exec_lo, s35
	;;#ASMSTART
	s_wakeup
	;;#ASMEND
.LBB2_373:                              ;   in Loop: Header=BB2_301 Depth=4
	s_or_b32 exec_lo, exec_lo, s34
.LBB2_374:                              ;   in Loop: Header=BB2_301 Depth=4
	s_and_not1_saveexec_b32 s12, s12
	s_cbranch_execz .LBB2_376
; %bb.375:                              ;   in Loop: Header=BB2_301 Depth=4
	s_waitcnt lgkmcnt(0)
	s_waitcnt_vscnt null, 0x0
	buffer_gl1_inv
	buffer_gl0_inv
	s_barrier
.LBB2_376:                              ;   in Loop: Header=BB2_301 Depth=4
	s_or_b32 exec_lo, exec_lo, s12
.LBB2_377:                              ;   in Loop: Header=BB2_301 Depth=4
	s_delay_alu instid0(SALU_CYCLE_1)
	s_or_b32 exec_lo, exec_lo, s11
	s_cbranch_execnz .LBB2_827
; %bb.378:                              ;   in Loop: Header=BB2_301 Depth=4
	ds_load_b64 v[54:55], v0
	v_mov_b32_e32 v9, 0
	s_waitcnt lgkmcnt(0)
	v_cmp_eq_u64_e32 vcc_lo, 0, v[54:55]
	s_or_b32 s11, vcc_lo, vcc_lo
	s_delay_alu instid0(SALU_CYCLE_1)
	s_and_b32 vcc_lo, exec_lo, s11
	s_cbranch_vccnz .LBB2_412
; %bb.379:                              ;   in Loop: Header=BB2_301 Depth=4
	s_mov_b32 s11, -1
	s_and_saveexec_b32 s12, s6
	s_cbranch_execz .LBB2_381
; %bb.380:                              ;   in Loop: Header=BB2_301 Depth=4
	ds_load_b32 v9, v0 offset:720
	s_waitcnt lgkmcnt(0)
	v_and_b32_e32 v9, 15, v9
	s_delay_alu instid0(VALU_DEP_1)
	v_cmp_eq_u32_e32 vcc_lo, 0, v9
	s_or_not1_b32 s11, vcc_lo, exec_lo
.LBB2_381:                              ;   in Loop: Header=BB2_301 Depth=4
	s_or_b32 exec_lo, exec_lo, s12
	s_and_saveexec_b32 s12, s6
	s_cbranch_execz .LBB2_383
; %bb.382:                              ;   in Loop: Header=BB2_301 Depth=4
	ds_load_b32 v9, v0 offset:784
	s_waitcnt lgkmcnt(0)
	v_and_b32_e32 v9, 15, v9
	s_delay_alu instid0(VALU_DEP_1) | instskip(SKIP_3) | instid1(SALU_CYCLE_1)
	v_cmp_eq_u32_e32 vcc_lo, 0, v9
	s_and_b32 vcc_lo, s11, vcc_lo
	s_and_not1_b32 s11, s11, exec_lo
	s_and_b32 vcc_lo, vcc_lo, exec_lo
	s_or_b32 s11, s11, vcc_lo
.LBB2_383:                              ;   in Loop: Header=BB2_301 Depth=4
	s_or_b32 exec_lo, exec_lo, s12
	v_cmp_eq_u32_e32 vcc_lo, 0, v27
	s_xor_b32 s11, s11, -1
	v_mov_b32_e32 v67, v0
	v_cndmask_b32_e64 v54, 0, 1, s11
	;;#ASMSTART
	;;#ASMEND
	v_cndmask_b32_e32 v9, 0, v8, vcc_lo
	s_delay_alu instid0(VALU_DEP_2)
	v_cmp_ne_u32_e32 vcc_lo, 0, v54
	v_mov_b32_e32 v27, 0
	v_mov_b32_e32 v81, v36
	s_mov_b32 s11, -1
	v_mov_b32_e32 v66, v9
	s_cbranch_vccnz .LBB2_399
; %bb.384:                              ;   in Loop: Header=BB2_301 Depth=4
	v_ashrrev_i32_e32 v27, 31, v9
	s_mov_b32 s12, exec_lo
	s_delay_alu instid0(VALU_DEP_1) | instskip(NEXT) | instid1(VALU_DEP_1)
	v_lshrrev_b32_e32 v27, 22, v27
	v_add_nc_u32_e32 v27, v9, v27
	s_delay_alu instid0(VALU_DEP_1) | instskip(NEXT) | instid1(VALU_DEP_1)
	v_ashrrev_i32_e32 v27, 10, v27
	v_sub_nc_u32_e32 v71, v27, v36
	s_delay_alu instid0(VALU_DEP_1)
	v_cmpx_lt_i32_e32 0, v71
	s_cbranch_execz .LBB2_389
; %bb.385:                              ;   in Loop: Header=BB2_301 Depth=4
	s_cbranch_execnz .LBB2_925
; %bb.386:                              ;   in Loop: Header=BB2_301 Depth=4
	ds_load_b64 v[54:55], v0
	v_dual_mov_b32 v65, v49 :: v_dual_mov_b32 v64, v48
	s_mov_b32 s34, 0
.LBB2_387:                              ;   Parent Loop BB2_65 Depth=1
                                        ;     Parent Loop BB2_101 Depth=2
                                        ;       Parent Loop BB2_299 Depth=3
                                        ;         Parent Loop BB2_301 Depth=4
                                        ; =>        This Inner Loop Header: Depth=5
	s_waitcnt lgkmcnt(0)
	s_delay_alu instid0(VALU_DEP_1) | instskip(NEXT) | instid1(VALU_DEP_2)
	v_add_co_u32 v66, vcc_lo, v54, v64
	v_add_co_ci_u32_e32 v67, vcc_lo, v55, v65, vcc_lo
	v_sub_nc_u32_e32 v71, v71, v101
	v_add_co_u32 v64, s11, v64, v103
	s_clause 0x1
	global_load_b128 v[80:83], v[66:67], off slc dlc
	global_load_b128 v[84:87], v[66:67], off offset:512 slc dlc
	v_add_co_ci_u32_e64 v65, s11, v65, v112, s11
	v_cmp_gt_i32_e32 vcc_lo, 1, v71
	s_waitcnt vmcnt(1)
	global_store_b128 v[66:67], v[80:83], off glc slc dlc
	s_waitcnt vmcnt(0)
	global_store_b128 v[66:67], v[84:87], off offset:512 glc slc dlc
	s_or_b32 s34, vcc_lo, s34
	s_delay_alu instid0(SALU_CYCLE_1)
	s_and_not1_b32 exec_lo, exec_lo, s34
	s_cbranch_execnz .LBB2_387
; %bb.388:                              ;   in Loop: Header=BB2_301 Depth=4
	s_or_b32 exec_lo, exec_lo, s34
.LBB2_389:                              ;   in Loop: Header=BB2_301 Depth=4
	s_delay_alu instid0(SALU_CYCLE_1) | instskip(SKIP_3) | instid1(VALU_DEP_1)
	s_or_b32 exec_lo, exec_lo, s12
	v_dual_mov_b32 v27, 0 :: v_dual_lshlrev_b32 v64, 10, v27
	s_mov_b32 s11, 0
	s_mov_b32 s34, exec_lo
                                        ; implicit-def: $vgpr66
                                        ; implicit-def: $vgpr67
                                        ; implicit-def: $vgpr81
	v_cmpx_ne_u32_e64 v9, v64
	s_cbranch_execz .LBB2_398
; %bb.390:                              ;   in Loop: Header=BB2_301 Depth=4
	v_lshlrev_b32_e32 v27, 5, v71
	v_sub_nc_u32_e32 v55, v9, v64
	s_mov_b32 s35, exec_lo
	s_delay_alu instid0(VALU_DEP_2) | instskip(NEXT) | instid1(VALU_DEP_2)
	v_sub_nc_u32_e32 v27, v100, v27
	v_ashrrev_i32_e32 v65, 31, v55
	s_delay_alu instid0(VALU_DEP_2) | instskip(NEXT) | instid1(VALU_DEP_2)
	v_ashrrev_i32_e32 v54, 31, v27
	v_lshrrev_b32_e32 v65, 23, v65
	s_delay_alu instid0(VALU_DEP_2) | instskip(NEXT) | instid1(VALU_DEP_2)
	v_lshrrev_b32_e32 v54, 27, v54
	v_add_nc_u32_e32 v67, v55, v65
	s_delay_alu instid0(VALU_DEP_2) | instskip(NEXT) | instid1(VALU_DEP_2)
	v_add_nc_u32_e32 v54, v27, v54
	v_and_b32_e32 v65, 0xfffffe00, v67
	v_ashrrev_i32_e32 v67, 9, v67
	s_delay_alu instid0(VALU_DEP_3) | instskip(NEXT) | instid1(VALU_DEP_3)
	v_and_b32_e32 v66, 0xffffffe0, v54
	v_sub_nc_u32_e32 v80, v55, v65
	v_ashrrev_i32_e32 v54, 5, v54
	s_delay_alu instid0(VALU_DEP_3) | instskip(NEXT) | instid1(VALU_DEP_3)
	v_sub_nc_u32_e32 v71, v27, v66
	v_cmp_lt_i32_e32 vcc_lo, 15, v80
	s_delay_alu instid0(VALU_DEP_2) | instskip(SKIP_1) | instid1(VALU_DEP_2)
	v_lshlrev_b32_e32 v27, 4, v71
	v_add_co_ci_u32_e64 v67, s11, 0, v67, vcc_lo
	v_lshl_add_u32 v66, v54, 9, v27
	s_delay_alu instid0(VALU_DEP_2) | instskip(NEXT) | instid1(VALU_DEP_2)
	v_sub_nc_u32_e32 v82, v67, v54
	v_sub_nc_u32_e32 v27, v55, v66
	s_delay_alu instid0(VALU_DEP_1)
	v_cmpx_lt_i32_e32 15, v27
	s_cbranch_execz .LBB2_395
; %bb.391:                              ;   in Loop: Header=BB2_301 Depth=4
	s_cbranch_execnz .LBB2_951
; %bb.392:                              ;   in Loop: Header=BB2_301 Depth=4
	ds_load_b64 v[54:55], v0
	v_add_nc_u32_e32 v66, v66, v64
	s_mov_b32 s36, 0
	s_delay_alu instid0(VALU_DEP_1)
	v_ashrrev_i32_e32 v67, 31, v66
.LBB2_393:                              ;   Parent Loop BB2_65 Depth=1
                                        ;     Parent Loop BB2_101 Depth=2
                                        ;       Parent Loop BB2_299 Depth=3
                                        ;         Parent Loop BB2_301 Depth=4
                                        ; =>        This Inner Loop Header: Depth=5
	s_waitcnt lgkmcnt(0)
	v_add_co_u32 v144, s11, v54, v66
	s_delay_alu instid0(VALU_DEP_1)
	v_add_co_ci_u32_e64 v145, s11, v55, v67, s11
	v_sub_nc_u32_e32 v27, v27, v102
	v_add_co_u32 v66, s12, v66, v113
	global_load_b128 v[83:86], v[144:145], off slc dlc
	v_sub_nc_u32_e32 v82, v82, v101
	v_cmp_gt_i32_e64 s11, 16, v27
	v_add_co_ci_u32_e64 v67, s12, v67, v114, s12
	s_delay_alu instid0(VALU_DEP_2)
	s_or_b32 s36, s11, s36
	s_waitcnt vmcnt(0)
	global_store_b128 v[144:145], v[83:86], off glc slc dlc
	s_and_not1_b32 exec_lo, exec_lo, s36
	s_cbranch_execnz .LBB2_393
; %bb.394:                              ;   in Loop: Header=BB2_301 Depth=4
	s_or_b32 exec_lo, exec_lo, s36
.LBB2_395:                              ;   in Loop: Header=BB2_301 Depth=4
	s_delay_alu instid0(SALU_CYCLE_1) | instskip(SKIP_3) | instid1(VALU_DEP_1)
	s_or_b32 exec_lo, exec_lo, s35
	v_dual_mov_b32 v27, 0 :: v_dual_and_b32 v54, 15, v9
	s_mov_b32 s12, 0
	s_mov_b32 s35, exec_lo
                                        ; implicit-def: $vgpr67
                                        ; implicit-def: $vgpr81
	v_cndmask_b32_e32 v66, v80, v54, vcc_lo
	s_delay_alu instid0(VALU_DEP_1)
	v_cmpx_ne_u32_e32 0, v66
; %bb.396:                              ;   in Loop: Header=BB2_301 Depth=4
	v_cmp_lt_i32_e64 s11, 0, v82
	v_sub_nc_u32_e32 v54, v80, v54
	s_mov_b32 s12, exec_lo
	s_delay_alu instid0(VALU_DEP_2) | instskip(NEXT) | instid1(VALU_DEP_1)
	v_cndmask_b32_e64 v27, 0, v101, s11
	v_sub_nc_u32_e32 v27, v27, v82
	s_delay_alu instid0(VALU_DEP_1) | instskip(NEXT) | instid1(VALU_DEP_1)
	v_lshl_add_u32 v67, v27, 5, v71
	v_ashrrev_i32_e32 v27, 31, v67
	s_delay_alu instid0(VALU_DEP_1) | instskip(NEXT) | instid1(VALU_DEP_1)
	v_lshrrev_b32_e32 v27, 27, v27
	v_dual_cndmask_b32 v54, 0, v54 :: v_dual_add_nc_u32 v55, v67, v27
	s_delay_alu instid0(VALU_DEP_1) | instskip(NEXT) | instid1(VALU_DEP_2)
	v_add3_u32 v27, v65, v64, v54
	v_ashrrev_i32_e32 v81, 5, v55
; %bb.397:                              ;   in Loop: Header=BB2_301 Depth=4
	s_or_b32 exec_lo, exec_lo, s35
	s_delay_alu instid0(SALU_CYCLE_1)
	s_and_b32 s11, s12, exec_lo
.LBB2_398:                              ;   in Loop: Header=BB2_301 Depth=4
	s_or_b32 exec_lo, exec_lo, s34
.LBB2_399:                              ;   in Loop: Header=BB2_301 Depth=4
	s_and_saveexec_b32 s12, s11
	s_cbranch_execz .LBB2_411
; %bb.400:                              ;   in Loop: Header=BB2_301 Depth=4
	s_delay_alu instid0(VALU_DEP_1) | instskip(SKIP_1) | instid1(VALU_DEP_1)
	v_ashrrev_i32_e32 v54, 31, v66
	s_mov_b32 s11, exec_lo
	v_lshrrev_b32_e32 v54, 24, v54
	s_delay_alu instid0(VALU_DEP_1) | instskip(NEXT) | instid1(VALU_DEP_1)
	v_add_nc_u32_e32 v54, v66, v54
	v_ashrrev_i32_e32 v80, 8, v54
	s_delay_alu instid0(VALU_DEP_1) | instskip(NEXT) | instid1(VALU_DEP_1)
	v_sub_nc_u32_e32 v71, v80, v81
	v_cmpx_lt_i32_e32 0, v71
	s_cbranch_execz .LBB2_405
; %bb.401:                              ;   in Loop: Header=BB2_301 Depth=4
	s_cbranch_execnz .LBB2_913
; %bb.402:                              ;   in Loop: Header=BB2_301 Depth=4
	v_ashrrev_i32_e32 v54, 31, v67
	s_mov_b32 s34, 0
	s_delay_alu instid0(VALU_DEP_1) | instskip(NEXT) | instid1(VALU_DEP_1)
	v_lshrrev_b32_e32 v54, 27, v54
	v_add_nc_u32_e32 v64, v67, v54
	ds_load_b64 v[54:55], v0
	v_lshlrev_b32_e32 v65, 8, v81
	v_and_b32_e32 v64, 0xffffffe0, v64
	s_delay_alu instid0(VALU_DEP_1) | instskip(NEXT) | instid1(VALU_DEP_1)
	v_sub_nc_u32_e32 v64, v67, v64
	v_add3_u32 v81, v27, v64, v65
	s_delay_alu instid0(VALU_DEP_1)
	v_ashrrev_i32_e32 v82, 31, v81
	s_waitcnt lgkmcnt(0)
	v_dual_mov_b32 v65, v55 :: v_dual_mov_b32 v64, v54
.LBB2_403:                              ;   Parent Loop BB2_65 Depth=1
                                        ;     Parent Loop BB2_101 Depth=2
                                        ;       Parent Loop BB2_299 Depth=3
                                        ;         Parent Loop BB2_301 Depth=4
                                        ; =>        This Inner Loop Header: Depth=5
	s_delay_alu instid0(VALU_DEP_1) | instskip(NEXT) | instid1(VALU_DEP_2)
	v_add_co_u32 v83, vcc_lo, v81, v64
	v_add_co_ci_u32_e32 v84, vcc_lo, v82, v65, vcc_lo
	v_sub_nc_u32_e32 v71, v71, v101
	s_clause 0x7
	flat_load_u8 v85, v[83:84] slc dlc
	flat_load_u8 v86, v[83:84] offset:32 slc dlc
	flat_load_u8 v87, v[83:84] offset:64 slc dlc
	flat_load_u8 v135, v[83:84] offset:96 slc dlc
	flat_load_u8 v144, v[83:84] offset:128 slc dlc
	flat_load_u8 v145, v[83:84] offset:160 slc dlc
	flat_load_u8 v146, v[83:84] offset:192 slc dlc
	flat_load_u8 v147, v[83:84] offset:224 slc dlc
	v_add_co_u32 v83, vcc_lo, v81, v54
	v_add_co_ci_u32_e32 v84, vcc_lo, v82, v55, vcc_lo
	v_add_co_u32 v64, vcc_lo, v64, v115
	v_add_co_ci_u32_e32 v65, vcc_lo, v65, v116, vcc_lo
	;; [unrolled: 2-line block ×3, first 2 shown]
	v_cmp_gt_i32_e32 vcc_lo, 1, v71
	s_waitcnt vmcnt(7) lgkmcnt(7)
	flat_store_b8 v[83:84], v85 glc slc dlc
	s_waitcnt vmcnt(6) lgkmcnt(7)
	flat_store_b8 v[83:84], v86 offset:32 glc slc dlc
	s_waitcnt vmcnt(5) lgkmcnt(7)
	flat_store_b8 v[83:84], v87 offset:64 glc slc dlc
	;; [unrolled: 2-line block ×7, first 2 shown]
	s_or_b32 s34, vcc_lo, s34
	s_delay_alu instid0(SALU_CYCLE_1)
	s_and_not1_b32 exec_lo, exec_lo, s34
	s_cbranch_execnz .LBB2_403
; %bb.404:                              ;   in Loop: Header=BB2_301 Depth=4
	s_or_b32 exec_lo, exec_lo, s34
.LBB2_405:                              ;   in Loop: Header=BB2_301 Depth=4
	s_delay_alu instid0(SALU_CYCLE_1) | instskip(SKIP_2) | instid1(VALU_DEP_1)
	s_or_b32 exec_lo, exec_lo, s11
	v_lshlrev_b32_e32 v54, 8, v80
	s_mov_b32 s34, exec_lo
	v_cmpx_ne_u32_e64 v66, v54
	s_cbranch_execz .LBB2_410
; %bb.406:                              ;   in Loop: Header=BB2_301 Depth=4
	v_ashrrev_i32_e32 v55, 31, v67
	v_lshlrev_b32_e32 v64, 5, v71
	s_delay_alu instid0(VALU_DEP_2) | instskip(NEXT) | instid1(VALU_DEP_1)
	v_lshrrev_b32_e32 v55, 27, v55
	v_add_nc_u32_e32 v55, v67, v55
	s_delay_alu instid0(VALU_DEP_1) | instskip(NEXT) | instid1(VALU_DEP_1)
	v_and_b32_e32 v55, 0xffffffe0, v55
	v_sub_nc_u32_e32 v55, v67, v55
	s_delay_alu instid0(VALU_DEP_1) | instskip(NEXT) | instid1(VALU_DEP_1)
	v_sub_nc_u32_e32 v55, v55, v64
	v_add_nc_u32_e32 v65, v54, v55
	s_delay_alu instid0(VALU_DEP_1) | instskip(NEXT) | instid1(VALU_DEP_1)
	v_sub_nc_u32_e32 v64, v66, v65
	v_cmp_lt_i32_e32 vcc_lo, 0, v64
	s_and_b32 exec_lo, exec_lo, vcc_lo
	s_cbranch_execz .LBB2_410
; %bb.407:                              ;   in Loop: Header=BB2_301 Depth=4
	s_cbranch_execnz .LBB2_947
; %bb.408:                              ;   in Loop: Header=BB2_301 Depth=4
	ds_load_b64 v[54:55], v0
	v_add_nc_u32_e32 v27, v65, v27
	s_mov_b32 s35, 0
	s_delay_alu instid0(VALU_DEP_1)
	v_ashrrev_i32_e32 v65, 31, v27
.LBB2_409:                              ;   Parent Loop BB2_65 Depth=1
                                        ;     Parent Loop BB2_101 Depth=2
                                        ;       Parent Loop BB2_299 Depth=3
                                        ;         Parent Loop BB2_301 Depth=4
                                        ; =>        This Inner Loop Header: Depth=5
	s_waitcnt lgkmcnt(0)
	v_add_co_u32 v66, vcc_lo, v54, v27
	s_delay_alu instid0(VALU_DEP_2)
	v_add_co_ci_u32_e32 v67, vcc_lo, v55, v65, vcc_lo
	v_sub_nc_u32_e32 v64, v64, v117
	v_add_co_u32 v27, s11, v27, v117
	flat_load_u8 v71, v[66:67] slc dlc
	v_add_co_ci_u32_e64 v65, s11, v65, v118, s11
	v_cmp_gt_i32_e32 vcc_lo, 1, v64
	s_or_b32 s35, vcc_lo, s35
	s_waitcnt vmcnt(0) lgkmcnt(0)
	flat_store_b8 v[66:67], v71 glc slc dlc
	s_and_not1_b32 exec_lo, exec_lo, s35
	s_cbranch_execnz .LBB2_409
.LBB2_410:                              ;   in Loop: Header=BB2_301 Depth=4
	s_or_b32 exec_lo, exec_lo, s34
.LBB2_411:                              ;   in Loop: Header=BB2_301 Depth=4
	s_delay_alu instid0(SALU_CYCLE_1)
	s_or_b32 exec_lo, exec_lo, s12
.LBB2_412:                              ;   in Loop: Header=BB2_301 Depth=4
	s_and_saveexec_b32 s11, s4
	s_cbranch_execz .LBB2_434
; %bb.413:                              ;   in Loop: Header=BB2_301 Depth=4
	s_and_saveexec_b32 s12, s5
	s_delay_alu instid0(SALU_CYCLE_1)
	s_xor_b32 s12, exec_lo, s12
	s_cbranch_execz .LBB2_431
; %bb.414:                              ;   in Loop: Header=BB2_301 Depth=4
	s_and_saveexec_b32 s34, s2
	s_cbranch_execz .LBB2_430
; %bb.415:                              ;   in Loop: Header=BB2_301 Depth=4
	s_mov_b32 s36, exec_lo
	s_mov_b32 s35, exec_lo
	v_mbcnt_lo_u32_b32 v27, s36, 0
	s_waitcnt lgkmcnt(0)
	s_waitcnt_vscnt null, 0x0
	buffer_gl1_inv
	buffer_gl0_inv
	v_cmpx_eq_u32_e32 0, v27
	s_cbranch_execz .LBB2_417
; %bb.416:                              ;   in Loop: Header=BB2_301 Depth=4
	s_bcnt1_i32_b32 vcc_lo, s36
	s_delay_alu instid0(SALU_CYCLE_1)
	v_dual_mov_b32 v55, v26 :: v_dual_mov_b32 v54, vcc_lo
	ds_add_u64 v0, v[54:55]
	s_cbranch_execnz .LBB2_939
.LBB2_417:                              ;   in Loop: Header=BB2_301 Depth=4
	s_or_b32 exec_lo, exec_lo, s35
	s_cbranch_execnz .LBB2_931
; %bb.418:                              ;   in Loop: Header=BB2_301 Depth=4
	ds_load_b64 v[54:55], v0
	v_add_co_u32 v10, vcc_lo, v10, v101
	v_add_co_ci_u32_e32 v11, vcc_lo, 0, v11, vcc_lo
	s_mov_b32 s35, exec_lo
	s_waitcnt lgkmcnt(0)
	s_delay_alu instid0(VALU_DEP_1)
	v_cmpx_lt_u64_e64 v[54:55], v[10:11]
	s_cbranch_execz .LBB2_429
; %bb.419:                              ;   in Loop: Header=BB2_301 Depth=4
	s_mov_b32 s36, 0
	s_mov_b32 s39, 0
                                        ; implicit-def: $sgpr37
                                        ; implicit-def: $sgpr38
	s_branch .LBB2_421
.LBB2_420:                              ;   in Loop: Header=BB2_421 Depth=5
	s_or_b32 exec_lo, exec_lo, s41
	s_delay_alu instid0(SALU_CYCLE_1) | instskip(NEXT) | instid1(SALU_CYCLE_1)
	s_and_b32 vcc_lo, exec_lo, vcc_lo
	s_or_b32 s36, vcc_lo, s36
	s_and_not1_b32 vcc_lo, s37, exec_lo
	s_and_b32 s37, s38, exec_lo
	s_delay_alu instid0(SALU_CYCLE_1)
	s_or_b32 s37, vcc_lo, s37
	s_and_not1_b32 exec_lo, exec_lo, s36
	s_cbranch_execz .LBB2_427
.LBB2_421:                              ;   Parent Loop BB2_65 Depth=1
                                        ;     Parent Loop BB2_101 Depth=2
                                        ;       Parent Loop BB2_299 Depth=3
                                        ;         Parent Loop BB2_301 Depth=4
                                        ; =>        This Inner Loop Header: Depth=5
	s_add_i32 s39, s39, 1
                                        ; implicit-def: $sgpr41
	s_delay_alu instid0(SALU_CYCLE_1) | instskip(SKIP_1) | instid1(SALU_CYCLE_1)
	s_cmpk_lg_i32 s39, 0x2710
	s_cselect_b32 s40, -1, 0
	s_and_b32 vcc_lo, exec_lo, s40
	s_cbranch_vccnz .LBB2_424
; %bb.422:                              ;   in Loop: Header=BB2_421 Depth=5
	s_cbranch_execnz .LBB2_963
; %bb.423:                              ;   in Loop: Header=BB2_421 Depth=5
	ds_load_b64 v[54:55], v0
	s_and_not1_b32 s40, s40, exec_lo
	s_mov_b32 s39, 0
	s_mov_b32 s41, -1
	s_waitcnt lgkmcnt(0)
	flat_load_b32 v27, v[54:55] glc
	s_waitcnt vmcnt(0) lgkmcnt(0)
	buffer_gl1_inv
	buffer_gl0_inv
	v_cmp_eq_u32_e32 vcc_lo, 0, v27
	s_and_b32 vcc_lo, vcc_lo, exec_lo
	s_delay_alu instid0(SALU_CYCLE_1)
	s_or_b32 s40, s40, vcc_lo
.LBB2_424:                              ;   in Loop: Header=BB2_421 Depth=5
	s_and_not1_b32 s38, s38, exec_lo
	s_and_b32 s41, s41, exec_lo
	s_mov_b32 vcc_lo, -1
	s_or_b32 s38, s38, s41
	s_and_saveexec_b32 s41, s40
	s_cbranch_execz .LBB2_420
; %bb.425:                              ;   in Loop: Header=BB2_421 Depth=5
	s_sleep 1
	s_cbranch_execnz .LBB2_959
; %bb.426:                              ;   in Loop: Header=BB2_421 Depth=5
	ds_load_b64 v[54:55], v0
	s_and_not1_b32 s38, s38, exec_lo
	s_waitcnt lgkmcnt(0)
	v_cmp_ge_u64_e32 vcc_lo, v[54:55], v[10:11]
	s_or_not1_b32 vcc_lo, vcc_lo, exec_lo
	s_branch .LBB2_420
.LBB2_427:                              ;   in Loop: Header=BB2_301 Depth=4
	s_or_b32 exec_lo, exec_lo, s36
	s_and_saveexec_b32 vcc_lo, s37
	s_delay_alu instid0(SALU_CYCLE_1)
	s_xor_b32 vcc_lo, exec_lo, vcc_lo
	s_cbranch_execz .LBB2_429
; %bb.428:                              ;   in Loop: Header=BB2_301 Depth=4
	ds_store_b32 v0, v130
	s_cbranch_execnz .LBB2_983
.LBB2_429:                              ;   in Loop: Header=BB2_301 Depth=4
	s_or_b32 exec_lo, exec_lo, s35
	;;#ASMSTART
	s_wakeup
	;;#ASMEND
.LBB2_430:                              ;   in Loop: Header=BB2_301 Depth=4
	s_or_b32 exec_lo, exec_lo, s34
.LBB2_431:                              ;   in Loop: Header=BB2_301 Depth=4
	s_and_not1_saveexec_b32 s12, s12
	s_cbranch_execz .LBB2_433
; %bb.432:                              ;   in Loop: Header=BB2_301 Depth=4
	s_waitcnt lgkmcnt(0)
	s_waitcnt_vscnt null, 0x0
	buffer_gl1_inv
	buffer_gl0_inv
	s_barrier
.LBB2_433:                              ;   in Loop: Header=BB2_301 Depth=4
	s_or_b32 exec_lo, exec_lo, s12
.LBB2_434:                              ;   in Loop: Header=BB2_301 Depth=4
	s_delay_alu instid0(SALU_CYCLE_1) | instskip(SKIP_2) | instid1(VALU_DEP_2)
	s_or_b32 exec_lo, exec_lo, s11
	v_and_b32_e32 v27, 16, v98
	v_cmp_lt_i32_e32 vcc_lo, 0, v9
	v_cmp_ne_u32_e64 s11, 0, v27
	s_delay_alu instid0(VALU_DEP_1) | instskip(NEXT) | instid1(SALU_CYCLE_1)
	s_and_b32 s12, s11, vcc_lo
	s_and_saveexec_b32 s11, s12
	s_cbranch_execz .LBB2_436
; %bb.435:                              ;   in Loop: Header=BB2_301 Depth=4
	s_waitcnt lgkmcnt(0)
	s_waitcnt_vscnt null, 0x0
	buffer_gl1_inv
	buffer_gl0_inv
.LBB2_436:                              ;   in Loop: Header=BB2_301 Depth=4
	s_or_b32 exec_lo, exec_lo, s11
	v_cmp_ne_u32_e32 vcc_lo, 0, v27
	s_xor_b32 s11, s7, -1
	s_delay_alu instid0(SALU_CYCLE_1) | instskip(NEXT) | instid1(SALU_CYCLE_1)
	s_and_b32 s12, vcc_lo, s11
	s_and_saveexec_b32 s11, s12
	s_cbranch_execz .LBB2_438
; %bb.437:                              ;   in Loop: Header=BB2_301 Depth=4
	s_waitcnt lgkmcnt(0)
	s_waitcnt_vscnt null, 0x0
	flat_store_b32 v[24:25], v130
.LBB2_438:                              ;   in Loop: Header=BB2_301 Depth=4
	s_or_b32 exec_lo, exec_lo, s11
	v_and_b32_e32 v9, 48, v98
	s_mov_b32 s11, exec_lo
	s_delay_alu instid0(VALU_DEP_1)
	v_cmpx_ne_u32_e32 0, v9
	s_cbranch_execz .LBB2_440
; %bb.439:                              ;   in Loop: Header=BB2_301 Depth=4
	v_add_co_u32 v18, vcc_lo, v18, 2
	v_add_co_ci_u32_e32 v19, vcc_lo, 0, v19, vcc_lo
	s_waitcnt lgkmcnt(0)
	s_waitcnt_vscnt null, 0x0
	flat_store_b64 v[16:17], v[18:19]
.LBB2_440:                              ;   in Loop: Header=BB2_301 Depth=4
	s_or_b32 exec_lo, exec_lo, s11
	v_dual_mov_b32 v9, s31 :: v_dual_add_nc_u32 v70, v8, v70
	s_xor_b32 s11, s30, -1
	s_mov_b32 s30, 0
	s_mov_b32 s31, 2
	s_delay_alu instid0(VALU_DEP_1) | instskip(SKIP_1) | instid1(SALU_CYCLE_1)
	v_cmp_ge_i32_e32 vcc_lo, v70, v68
	s_or_b32 s11, s11, vcc_lo
	s_and_b32 s11, exec_lo, s11
	s_delay_alu instid0(SALU_CYCLE_1) | instskip(NEXT) | instid1(SALU_CYCLE_1)
	s_or_b32 vcc_hi, s11, vcc_hi
	s_and_not1_b32 exec_lo, exec_lo, vcc_hi
	s_cbranch_execnz .LBB2_301
; %bb.441:                              ;   in Loop: Header=BB2_299 Depth=3
	s_or_b32 exec_lo, exec_lo, vcc_hi
.LBB2_442:                              ;   in Loop: Header=BB2_299 Depth=3
	s_delay_alu instid0(SALU_CYCLE_1) | instskip(NEXT) | instid1(SALU_CYCLE_1)
	s_or_b32 exec_lo, exec_lo, s29
	s_mov_b32 s12, exec_lo
	v_cmpx_gt_i32_e32 2, v9
	s_cbranch_execz .LBB2_504
; %bb.443:                              ;   in Loop: Header=BB2_299 Depth=3
	v_cmp_eq_u32_e64 s11, 0, v9
	s_mov_b32 s29, 0
.LBB2_444:                              ;   Parent Loop BB2_65 Depth=1
                                        ;     Parent Loop BB2_101 Depth=2
                                        ;       Parent Loop BB2_299 Depth=3
                                        ; =>      This Loop Header: Depth=4
                                        ;           Child Loop BB2_450 Depth 5
                                        ;           Child Loop BB2_482 Depth 5
	v_and_b32_e32 v9, 12, v98
	s_mov_b32 s30, -1
	s_mov_b32 vcc_hi, exec_lo
	s_delay_alu instid0(VALU_DEP_1)
	v_cmpx_ne_u32_e32 0, v9
	s_cbranch_execz .LBB2_458
; %bb.445:                              ;   in Loop: Header=BB2_444 Depth=4
	v_and_b32_e32 v9, 8, v98
	v_mov_b32_e32 v27, 1
	s_mov_b32 s30, exec_lo
	s_delay_alu instid0(VALU_DEP_2) | instskip(SKIP_3) | instid1(VALU_DEP_1)
	v_add_co_u32 v64, vcc_lo, v22, v9
	v_add_co_ci_u32_e32 v65, vcc_lo, 0, v23, vcc_lo
	v_add_co_u32 v54, vcc_lo, v18, 2
	v_add_co_ci_u32_e32 v55, vcc_lo, 0, v19, vcc_lo
	v_cmpx_lt_u64_e64 v[64:65], v[54:55]
	s_cbranch_execz .LBB2_457
; %bb.446:                              ;   in Loop: Header=BB2_444 Depth=4
	v_mov_b32_e32 v27, 0
	s_mov_b32 s31, 0
                                        ; implicit-def: $sgpr34
	s_branch .LBB2_450
.LBB2_447:                              ;   in Loop: Header=BB2_450 Depth=5
	s_or_b32 exec_lo, exec_lo, s38
	v_mov_b32_e32 v64, 0
	s_or_not1_b32 s37, s37, exec_lo
.LBB2_448:                              ;   in Loop: Header=BB2_450 Depth=5
	s_or_b32 exec_lo, exec_lo, s36
	s_delay_alu instid0(VALU_DEP_1) | instskip(SKIP_2) | instid1(SALU_CYCLE_1)
	v_mov_b32_e32 v27, v64
	s_and_not1_b32 vcc_lo, s34, exec_lo
	s_and_b32 s34, s37, exec_lo
	s_or_b32 s34, vcc_lo, s34
.LBB2_449:                              ;   in Loop: Header=BB2_450 Depth=5
	s_or_b32 exec_lo, exec_lo, s35
	s_waitcnt vmcnt(0) lgkmcnt(0)
	v_add_co_u32 v64, vcc_lo, v22, v9
	v_add_co_ci_u32_e32 v65, vcc_lo, 0, v23, vcc_lo
	s_xor_b32 s35, s34, -1
	s_delay_alu instid0(VALU_DEP_1) | instskip(SKIP_1) | instid1(SALU_CYCLE_1)
	v_cmp_ge_u64_e32 vcc_lo, v[64:65], v[54:55]
	s_or_b32 vcc_lo, s35, vcc_lo
	s_and_b32 vcc_lo, exec_lo, vcc_lo
	s_delay_alu instid0(SALU_CYCLE_1) | instskip(NEXT) | instid1(SALU_CYCLE_1)
	s_or_b32 s31, vcc_lo, s31
	s_and_not1_b32 exec_lo, exec_lo, s31
	s_cbranch_execz .LBB2_456
.LBB2_450:                              ;   Parent Loop BB2_65 Depth=1
                                        ;     Parent Loop BB2_101 Depth=2
                                        ;       Parent Loop BB2_299 Depth=3
                                        ;         Parent Loop BB2_444 Depth=4
                                        ; =>        This Inner Loop Header: Depth=5
	s_sleep 1
	flat_load_b64 v[22:23], v[16:17] glc
	v_and_b32_e32 v64, 64, v98
	s_and_not1_b32 s34, s34, exec_lo
	s_mov_b32 s35, exec_lo
	s_delay_alu instid0(VALU_DEP_1)
	v_cmpx_eq_u32_e32 0, v64
	s_cbranch_execz .LBB2_449
; %bb.451:                              ;   in Loop: Header=BB2_450 Depth=5
	v_add_nc_u32_e32 v64, 1, v27
	s_mov_b32 s37, -1
	s_mov_b32 s36, exec_lo
	v_cmpx_lt_i32_e32 0x270e, v27
	s_cbranch_execz .LBB2_448
; %bb.452:                              ;   in Loop: Header=BB2_450 Depth=5
	s_cbranch_execnz .LBB2_817
; %bb.453:                              ;   in Loop: Header=BB2_450 Depth=5
	ds_load_b64 v[64:65], v0
	s_mov_b32 s38, exec_lo
	s_waitcnt vmcnt(0) lgkmcnt(0)
	s_waitcnt_vscnt null, 0x0
	flat_load_b32 v27, v[64:65] glc
	s_waitcnt vmcnt(0) lgkmcnt(0)
	buffer_gl1_inv
	buffer_gl0_inv
	v_cmpx_ne_u32_e32 0, v27
	s_cbranch_execz .LBB2_447
; %bb.454:                              ;   in Loop: Header=BB2_450 Depth=5
	ds_store_b32 v0, v27
	s_cbranch_execnz .LBB2_859
; %bb.455:                              ;   in Loop: Header=BB2_450 Depth=5
	v_or_b32_e32 v98, 64, v98
	s_xor_b32 s37, exec_lo, -1
	s_branch .LBB2_447
.LBB2_456:                              ;   in Loop: Header=BB2_444 Depth=4
	s_or_b32 exec_lo, exec_lo, s31
	v_and_b32_e32 v27, 12, v98
.LBB2_457:                              ;   in Loop: Header=BB2_444 Depth=4
	s_or_b32 exec_lo, exec_lo, s30
	s_delay_alu instid0(VALU_DEP_1)
	v_cmp_eq_u32_e32 vcc_lo, 0, v27
	;;#ASMSTART
	s_wakeup
	;;#ASMEND
	s_or_not1_b32 s30, vcc_lo, exec_lo
.LBB2_458:                              ;   in Loop: Header=BB2_444 Depth=4
	s_or_b32 exec_lo, exec_lo, vcc_hi
	v_sub_nc_u32_e32 v9, v68, v70
	s_xor_b32 s11, s11, -1
	s_delay_alu instid0(SALU_CYCLE_1) | instskip(NEXT) | instid1(SALU_CYCLE_1)
	s_and_b32 s11, exec_lo, s11
	s_or_b32 s29, s11, s29
	s_delay_alu instid0(VALU_DEP_1) | instskip(SKIP_1) | instid1(SALU_CYCLE_1)
	v_min_i32_e32 v8, v8, v9
	s_xor_b32 s11, s30, -1
	s_and_saveexec_b32 vcc_hi, s11
	s_cbranch_execz .LBB2_473
; %bb.459:                              ;   in Loop: Header=BB2_444 Depth=4
	v_and_b32_e32 v9, 0x108, v98
	v_and_b32_e32 v27, 7, v18
	s_mov_b32 s11, exec_lo
	s_delay_alu instid0(VALU_DEP_2)
	v_cmpx_ne_u32_e32 0x108, v9
	s_xor_b32 s11, exec_lo, s11
                                        ; implicit-def: $vgpr54_vgpr55
; %bb.460:                              ;   in Loop: Header=BB2_444 Depth=4
	v_mov_b32_e32 v55, v26
; %bb.461:                              ;   in Loop: Header=BB2_444 Depth=4
	s_and_not1_saveexec_b32 s11, s11
	s_cbranch_execz .LBB2_463
; %bb.462:                              ;   in Loop: Header=BB2_444 Depth=4
	v_mad_u64_u32 v[64:65], null, v27, 24, v[4:5]
	v_ashrrev_i32_e32 v9, 31, v8
	v_mov_b32_e32 v55, v26
	flat_store_b64 v[64:65], v[8:9] offset:8
.LBB2_463:                              ;   in Loop: Header=BB2_444 Depth=4
	s_or_b32 exec_lo, exec_lo, s11
	v_and_b32_e32 v9, 0x100, v98
	s_mov_b32 s11, -1
	s_mov_b32 s30, exec_lo
                                        ; implicit-def: $vgpr64_vgpr65
	s_delay_alu instid0(VALU_DEP_1)
	v_cmpx_ne_u32_e32 0, v9
	s_cbranch_execnz .LBB2_466
; %bb.464:                              ;   in Loop: Header=BB2_444 Depth=4
	s_or_b32 exec_lo, exec_lo, s30
	s_and_saveexec_b32 vcc_lo, s11
	s_cbranch_execnz .LBB2_469
.LBB2_465:                              ;   in Loop: Header=BB2_444 Depth=4
	s_or_b32 exec_lo, exec_lo, vcc_lo
	s_cbranch_execnz .LBB2_813
	s_branch .LBB2_470
.LBB2_466:                              ;   in Loop: Header=BB2_444 Depth=4
	v_mad_u64_u32 v[66:67], null, v27, 24, v[4:5]
	s_mov_b32 s31, exec_lo
	s_delay_alu instid0(VALU_DEP_1) | instskip(NEXT) | instid1(VALU_DEP_1)
	v_mov_b32_e32 v9, v67
	v_mad_u64_u32 v[64:65], null, v55, 24, v[9:10]
	s_delay_alu instid0(VALU_DEP_1)
	v_mov_b32_e32 v67, v64
                                        ; implicit-def: $vgpr64_vgpr65
	flat_load_b32 v9, v[66:67]
	s_waitcnt vmcnt(0) lgkmcnt(0)
	v_cmp_ne_u32_e32 vcc_lo, 1, v9
	v_cmpx_eq_u32_e32 1, v9
	s_cbranch_execz .LBB2_468
; %bb.467:                              ;   in Loop: Header=BB2_444 Depth=4
	flat_load_b32 v64, v[66:67] offset:4 glc
	s_waitcnt vmcnt(0) lgkmcnt(0)
	v_ashrrev_i32_e32 v65, 31, v64
.LBB2_468:                              ;   in Loop: Header=BB2_444 Depth=4
	s_or_b32 exec_lo, exec_lo, s31
	s_delay_alu instid0(SALU_CYCLE_1)
	s_or_not1_b32 s11, vcc_lo, exec_lo
	s_or_b32 exec_lo, exec_lo, s30
	s_and_saveexec_b32 vcc_lo, s11
	s_cbranch_execz .LBB2_465
.LBB2_469:                              ;   in Loop: Header=BB2_444 Depth=4
	v_mul_lo_u32 v9, v55, v99
	v_mul_lo_u32 v54, v27, v119
	v_mad_u64_u32 v[64:65], null, v27, v99, 0
	s_delay_alu instid0(VALU_DEP_1)
	v_add3_u32 v65, v65, v54, v9
	s_or_b32 exec_lo, exec_lo, vcc_lo
	s_cbranch_execnz .LBB2_813
.LBB2_470:                              ;   in Loop: Header=BB2_444 Depth=4
	s_delay_alu instid0(VALU_DEP_2)
	v_add_co_u32 v54, vcc_lo, v20, v64
	v_and_b32_e32 v9, 0x2000, v98
	v_add_co_ci_u32_e32 v55, vcc_lo, v21, v65, vcc_lo
	s_mov_b32 s11, exec_lo
	ds_store_b64 v0, v[54:55]
	v_cmpx_ne_u32_e32 0, v9
	s_cbranch_execz .LBB2_472
; %bb.471:                              ;   in Loop: Header=BB2_444 Depth=4
	ds_load_b64 v[54:55], v0 offset:584
	s_waitcnt lgkmcnt(0)
	v_add_co_u32 v54, vcc_lo, v54, 1
	v_add_co_ci_u32_e32 v55, vcc_lo, 0, v55, vcc_lo
	ds_store_b64 v0, v[54:55] offset:584
.LBB2_472:                              ;   in Loop: Header=BB2_444 Depth=4
	s_or_b32 exec_lo, exec_lo, s11
	v_add_co_u32 v18, vcc_lo, v18, 2
	v_add_co_ci_u32_e32 v19, vcc_lo, 0, v19, vcc_lo
.LBB2_473:                              ;   in Loop: Header=BB2_444 Depth=4
	s_or_b32 exec_lo, exec_lo, vcc_hi
	s_and_saveexec_b32 s11, s4
	s_cbranch_execz .LBB2_495
; %bb.474:                              ;   in Loop: Header=BB2_444 Depth=4
	s_and_saveexec_b32 vcc_lo, s5
	s_delay_alu instid0(SALU_CYCLE_1)
	s_xor_b32 vcc_hi, exec_lo, vcc_lo
	s_cbranch_execz .LBB2_492
; %bb.475:                              ;   in Loop: Header=BB2_444 Depth=4
	s_and_saveexec_b32 s30, s2
	s_cbranch_execz .LBB2_491
; %bb.476:                              ;   in Loop: Header=BB2_444 Depth=4
	s_mov_b32 s34, exec_lo
	s_mov_b32 s31, exec_lo
	v_mbcnt_lo_u32_b32 v9, s34, 0
	s_waitcnt lgkmcnt(0)
	s_waitcnt_vscnt null, 0x0
	buffer_gl1_inv
	buffer_gl0_inv
	v_cmpx_eq_u32_e32 0, v9
	s_cbranch_execz .LBB2_478
; %bb.477:                              ;   in Loop: Header=BB2_444 Depth=4
	s_bcnt1_i32_b32 vcc_lo, s34
	s_delay_alu instid0(SALU_CYCLE_1)
	v_dual_mov_b32 v55, v26 :: v_dual_mov_b32 v54, vcc_lo
	ds_add_u64 v0, v[54:55]
	s_cbranch_execnz .LBB2_889
.LBB2_478:                              ;   in Loop: Header=BB2_444 Depth=4
	s_or_b32 exec_lo, exec_lo, s31
	s_cbranch_execnz .LBB2_875
; %bb.479:                              ;   in Loop: Header=BB2_444 Depth=4
	ds_load_b64 v[54:55], v0
	v_add_co_u32 v10, vcc_lo, v10, v101
	v_add_co_ci_u32_e32 v11, vcc_lo, 0, v11, vcc_lo
	s_mov_b32 s31, exec_lo
	s_waitcnt lgkmcnt(0)
	s_delay_alu instid0(VALU_DEP_1)
	v_cmpx_lt_u64_e64 v[54:55], v[10:11]
	s_cbranch_execz .LBB2_490
; %bb.480:                              ;   in Loop: Header=BB2_444 Depth=4
	s_mov_b32 s34, 0
	s_mov_b32 s37, 0
                                        ; implicit-def: $sgpr35
                                        ; implicit-def: $sgpr36
	s_branch .LBB2_482
.LBB2_481:                              ;   in Loop: Header=BB2_482 Depth=5
	s_or_b32 exec_lo, exec_lo, s39
	s_delay_alu instid0(SALU_CYCLE_1) | instskip(NEXT) | instid1(SALU_CYCLE_1)
	s_and_b32 vcc_lo, exec_lo, vcc_lo
	s_or_b32 s34, vcc_lo, s34
	s_and_not1_b32 vcc_lo, s35, exec_lo
	s_and_b32 s35, s36, exec_lo
	s_delay_alu instid0(SALU_CYCLE_1)
	s_or_b32 s35, vcc_lo, s35
	s_and_not1_b32 exec_lo, exec_lo, s34
	s_cbranch_execz .LBB2_488
.LBB2_482:                              ;   Parent Loop BB2_65 Depth=1
                                        ;     Parent Loop BB2_101 Depth=2
                                        ;       Parent Loop BB2_299 Depth=3
                                        ;         Parent Loop BB2_444 Depth=4
                                        ; =>        This Inner Loop Header: Depth=5
	s_add_i32 s37, s37, 1
                                        ; implicit-def: $sgpr39
	s_delay_alu instid0(SALU_CYCLE_1) | instskip(SKIP_1) | instid1(SALU_CYCLE_1)
	s_cmpk_lg_i32 s37, 0x2710
	s_cselect_b32 s38, -1, 0
	s_and_b32 vcc_lo, exec_lo, s38
	s_cbranch_vccz .LBB2_486
.LBB2_483:                              ;   in Loop: Header=BB2_482 Depth=5
	s_and_not1_b32 s36, s36, exec_lo
	s_and_b32 s39, s39, exec_lo
	s_mov_b32 vcc_lo, -1
	s_or_b32 s36, s36, s39
	s_and_saveexec_b32 s39, s38
	s_cbranch_execz .LBB2_481
; %bb.484:                              ;   in Loop: Header=BB2_482 Depth=5
	s_sleep 1
	s_cbranch_execnz .LBB2_915
; %bb.485:                              ;   in Loop: Header=BB2_482 Depth=5
	ds_load_b64 v[54:55], v0
	s_and_not1_b32 s36, s36, exec_lo
	s_waitcnt lgkmcnt(0)
	v_cmp_ge_u64_e32 vcc_lo, v[54:55], v[10:11]
	s_or_not1_b32 vcc_lo, vcc_lo, exec_lo
	s_branch .LBB2_481
.LBB2_486:                              ;   in Loop: Header=BB2_482 Depth=5
	s_cbranch_execnz .LBB2_929
; %bb.487:                              ;   in Loop: Header=BB2_482 Depth=5
	ds_load_b64 v[54:55], v0
	s_and_not1_b32 s38, s38, exec_lo
	s_mov_b32 s37, 0
	s_mov_b32 s39, -1
	s_waitcnt lgkmcnt(0)
	flat_load_b32 v9, v[54:55] glc
	s_waitcnt vmcnt(0) lgkmcnt(0)
	buffer_gl1_inv
	buffer_gl0_inv
	v_cmp_eq_u32_e32 vcc_lo, 0, v9
	s_and_b32 vcc_lo, vcc_lo, exec_lo
	s_delay_alu instid0(SALU_CYCLE_1)
	s_or_b32 s38, s38, vcc_lo
	s_branch .LBB2_483
.LBB2_488:                              ;   in Loop: Header=BB2_444 Depth=4
	s_or_b32 exec_lo, exec_lo, s34
	s_and_saveexec_b32 vcc_lo, s35
	s_delay_alu instid0(SALU_CYCLE_1)
	s_xor_b32 vcc_lo, exec_lo, vcc_lo
	s_cbranch_execz .LBB2_490
; %bb.489:                              ;   in Loop: Header=BB2_444 Depth=4
	ds_store_b32 v0, v130
	s_cbranch_execnz .LBB2_975
.LBB2_490:                              ;   in Loop: Header=BB2_444 Depth=4
	s_or_b32 exec_lo, exec_lo, s31
	;;#ASMSTART
	s_wakeup
	;;#ASMEND
.LBB2_491:                              ;   in Loop: Header=BB2_444 Depth=4
	s_or_b32 exec_lo, exec_lo, s30
.LBB2_492:                              ;   in Loop: Header=BB2_444 Depth=4
	s_and_not1_saveexec_b32 vcc_lo, vcc_hi
	s_cbranch_execz .LBB2_494
; %bb.493:                              ;   in Loop: Header=BB2_444 Depth=4
	s_waitcnt lgkmcnt(0)
	s_waitcnt_vscnt null, 0x0
	buffer_gl1_inv
	buffer_gl0_inv
	s_barrier
.LBB2_494:                              ;   in Loop: Header=BB2_444 Depth=4
	s_or_b32 exec_lo, exec_lo, vcc_lo
.LBB2_495:                              ;   in Loop: Header=BB2_444 Depth=4
	s_delay_alu instid0(SALU_CYCLE_1)
	s_or_b32 exec_lo, exec_lo, s11
	s_cbranch_execnz .LBB2_805
; %bb.496:                              ;   in Loop: Header=BB2_444 Depth=4
	ds_load_b32 v9, v0
	v_cmp_lt_i32_e32 vcc_lo, 0, v8
	s_waitcnt lgkmcnt(0)
	v_readfirstlane_b32 s11, v9
	v_and_b32_e32 v9, 16, v98
	s_delay_alu instid0(VALU_DEP_2) | instskip(NEXT) | instid1(VALU_DEP_1)
	s_cmp_eq_u32 s11, 0
	v_cmp_ne_u32_e64 s11, 0, v9
	s_cselect_b32 vcc_hi, -1, 0
	s_delay_alu instid0(SALU_CYCLE_1)
	s_and_b32 vcc_lo, vcc_lo, vcc_hi
	s_delay_alu instid0(VALU_DEP_1) | instid1(SALU_CYCLE_1)
	s_and_b32 vcc_lo, s11, vcc_lo
	s_delay_alu instid0(SALU_CYCLE_1)
	s_and_saveexec_b32 s11, vcc_lo
	s_cbranch_execz .LBB2_498
; %bb.497:                              ;   in Loop: Header=BB2_444 Depth=4
	s_waitcnt_vscnt null, 0x0
	buffer_gl1_inv
	buffer_gl0_inv
.LBB2_498:                              ;   in Loop: Header=BB2_444 Depth=4
	s_or_b32 exec_lo, exec_lo, s11
	v_cmp_ne_u32_e32 vcc_lo, 0, v9
	s_xor_b32 s11, s7, -1
	s_delay_alu instid0(SALU_CYCLE_1) | instskip(NEXT) | instid1(SALU_CYCLE_1)
	s_and_b32 vcc_lo, vcc_lo, s11
	s_and_saveexec_b32 s11, vcc_lo
	s_cbranch_execz .LBB2_500
; %bb.499:                              ;   in Loop: Header=BB2_444 Depth=4
	s_waitcnt_vscnt null, 0x0
	flat_store_b32 v[24:25], v130
.LBB2_500:                              ;   in Loop: Header=BB2_444 Depth=4
	s_or_b32 exec_lo, exec_lo, s11
	v_and_b32_e32 v9, 48, v98
	s_mov_b32 s11, exec_lo
	s_delay_alu instid0(VALU_DEP_1)
	v_cmpx_ne_u32_e32 0, v9
	s_cbranch_execz .LBB2_502
; %bb.501:                              ;   in Loop: Header=BB2_444 Depth=4
	v_add_co_u32 v18, vcc_lo, v18, 2
	v_add_co_ci_u32_e32 v19, vcc_lo, 0, v19, vcc_lo
	s_waitcnt lgkmcnt(0)
	s_waitcnt_vscnt null, 0x0
	flat_store_b64 v[16:17], v[18:19]
.LBB2_502:                              ;   in Loop: Header=BB2_444 Depth=4
	s_or_b32 exec_lo, exec_lo, s11
	v_add_nc_u32_e32 v70, v8, v70
	s_mov_b32 s11, 0
	s_and_not1_b32 exec_lo, exec_lo, s29
	s_cbranch_execnz .LBB2_444
; %bb.503:                              ;   in Loop: Header=BB2_299 Depth=3
	s_or_b32 exec_lo, exec_lo, s29
.LBB2_504:                              ;   in Loop: Header=BB2_299 Depth=3
	s_delay_alu instid0(SALU_CYCLE_1) | instskip(SKIP_1) | instid1(SALU_CYCLE_1)
	s_or_b32 exec_lo, exec_lo, s12
	s_add_i32 s28, s28, 1
	s_cmp_ge_i32 s28, s24
	s_cbranch_scc0 .LBB2_299
.LBB2_505:                              ;   in Loop: Header=BB2_101 Depth=2
	v_add_co_u32 v66, vcc_lo, v6, v133
	v_add_co_ci_u32_e32 v67, vcc_lo, v7, v134, vcc_lo
	s_mov_b32 s28, 0
	s_delay_alu instid0(VALU_DEP_2) | instskip(SKIP_1) | instid1(VALU_DEP_2)
	v_max_i32_e32 v27, 0, v66
	v_cmp_lt_i32_e32 vcc_lo, 0, v66
	v_dual_mov_b32 v65, 0 :: v_dual_add_nc_u32 v8, 31, v27
	s_and_b32 s11, s21, vcc_lo
	s_delay_alu instid0(VALU_DEP_1) | instskip(NEXT) | instid1(VALU_DEP_1)
	v_lshrrev_b32_e32 v8, 1, v8
	v_dual_mov_b32 v8, 0 :: v_dual_and_b32 v9, 0x3ffffff0, v8
	s_delay_alu instid0(VALU_DEP_1)
	v_max_i32_e32 v64, s19, v9
	s_and_saveexec_b32 s27, s11
	s_cbranch_execz .LBB2_642
; %bb.506:                              ;   in Loop: Header=BB2_101 Depth=2
	v_mov_b32_e32 v65, 0
	s_mov_b32 vcc_hi, 1
	s_mov_b32 s29, -1
.LBB2_507:                              ;   Parent Loop BB2_65 Depth=1
                                        ;     Parent Loop BB2_101 Depth=2
                                        ; =>    This Loop Header: Depth=3
                                        ;         Child Loop BB2_516 Depth 4
                                        ;         Child Loop BB2_543 Depth 4
	;; [unrolled: 1-line block ×8, first 2 shown]
	s_and_saveexec_b32 s12, s0
	s_cbranch_execz .LBB2_510
; %bb.508:                              ;   in Loop: Header=BB2_507 Depth=3
	s_cbranch_execnz .LBB2_795
; %bb.509:                              ;   in Loop: Header=BB2_507 Depth=3
	ds_load_b128 v[68:71], v0
	v_ashrrev_i32_e32 v9, 31, v65
	s_waitcnt lgkmcnt(0)
	v_add_co_u32 v8, vcc_lo, v70, v66
	v_add_co_ci_u32_e32 v54, vcc_lo, v71, v67, vcc_lo
	v_add_co_u32 v55, vcc_lo, v68, v66
	v_add_co_ci_u32_e32 v68, vcc_lo, v69, v67, vcc_lo
	s_delay_alu instid0(VALU_DEP_4) | instskip(NEXT) | instid1(VALU_DEP_4)
	v_add_co_u32 v69, vcc_lo, v8, v65
	v_add_co_ci_u32_e32 v54, vcc_lo, v54, v9, vcc_lo
	v_cmp_ne_u64_e32 vcc_lo, 0, v[70:71]
	v_add_co_u32 v8, s11, v55, v65
	s_delay_alu instid0(VALU_DEP_1) | instskip(NEXT) | instid1(VALU_DEP_4)
	v_add_co_ci_u32_e64 v9, s11, v68, v9, s11
	v_dual_cndmask_b32 v55, 0, v54 :: v_dual_cndmask_b32 v54, 0, v69
	ds_store_b64 v0, v[8:9]
	ds_store_b64 v0, v[54:55]
.LBB2_510:                              ;   in Loop: Header=BB2_507 Depth=3
	s_or_b32 exec_lo, exec_lo, s12
	v_and_b32_e32 v8, 4, v98
	s_mov_b32 s12, -1
	s_mov_b32 s11, exec_lo
	s_delay_alu instid0(VALU_DEP_1)
	v_cmpx_ne_u32_e32 0, v8
	s_cbranch_execz .LBB2_524
; %bb.511:                              ;   in Loop: Header=BB2_507 Depth=3
	v_add_co_u32 v8, vcc_lo, v18, 2
	v_add_co_ci_u32_e32 v9, vcc_lo, 0, v19, vcc_lo
	v_mov_b32_e32 v54, 1
	s_mov_b32 s12, exec_lo
	s_delay_alu instid0(VALU_DEP_2)
	v_cmpx_lt_u64_e64 v[22:23], v[8:9]
	s_cbranch_execz .LBB2_523
; %bb.512:                              ;   in Loop: Header=BB2_507 Depth=3
	v_mov_b32_e32 v54, 0
	s_mov_b32 s30, 0
                                        ; implicit-def: $sgpr31
	s_branch .LBB2_516
.LBB2_513:                              ;   in Loop: Header=BB2_516 Depth=4
	s_or_b32 exec_lo, exec_lo, s37
	v_mov_b32_e32 v55, 0
	s_or_not1_b32 s36, s36, exec_lo
.LBB2_514:                              ;   in Loop: Header=BB2_516 Depth=4
	s_or_b32 exec_lo, exec_lo, s35
	s_delay_alu instid0(VALU_DEP_1) | instskip(SKIP_2) | instid1(SALU_CYCLE_1)
	v_mov_b32_e32 v54, v55
	s_and_not1_b32 vcc_lo, s31, exec_lo
	s_and_b32 s31, s36, exec_lo
	s_or_b32 s31, vcc_lo, s31
.LBB2_515:                              ;   in Loop: Header=BB2_516 Depth=4
	s_or_b32 exec_lo, exec_lo, s34
	s_waitcnt vmcnt(0) lgkmcnt(0)
	v_cmp_ge_u64_e32 vcc_lo, v[22:23], v[8:9]
	s_xor_b32 s34, s31, -1
	s_delay_alu instid0(SALU_CYCLE_1) | instskip(NEXT) | instid1(SALU_CYCLE_1)
	s_or_b32 vcc_lo, s34, vcc_lo
	s_and_b32 vcc_lo, exec_lo, vcc_lo
	s_delay_alu instid0(SALU_CYCLE_1) | instskip(NEXT) | instid1(SALU_CYCLE_1)
	s_or_b32 s30, vcc_lo, s30
	s_and_not1_b32 exec_lo, exec_lo, s30
	s_cbranch_execz .LBB2_522
.LBB2_516:                              ;   Parent Loop BB2_65 Depth=1
                                        ;     Parent Loop BB2_101 Depth=2
                                        ;       Parent Loop BB2_507 Depth=3
                                        ; =>      This Inner Loop Header: Depth=4
	s_sleep 1
	flat_load_b64 v[22:23], v[16:17] glc
	v_and_b32_e32 v55, 64, v98
	s_and_not1_b32 s31, s31, exec_lo
	s_mov_b32 s34, exec_lo
	s_delay_alu instid0(VALU_DEP_1)
	v_cmpx_eq_u32_e32 0, v55
	s_cbranch_execz .LBB2_515
; %bb.517:                              ;   in Loop: Header=BB2_516 Depth=4
	v_add_nc_u32_e32 v55, 1, v54
	s_mov_b32 s36, -1
	s_mov_b32 s35, exec_lo
	v_cmpx_lt_i32_e32 0x270e, v54
	s_cbranch_execz .LBB2_514
; %bb.518:                              ;   in Loop: Header=BB2_516 Depth=4
	s_cbranch_execnz .LBB2_821
; %bb.519:                              ;   in Loop: Header=BB2_516 Depth=4
	ds_load_b64 v[54:55], v0
	s_mov_b32 s37, exec_lo
	s_waitcnt vmcnt(0) lgkmcnt(0)
	s_waitcnt_vscnt null, 0x0
	flat_load_b32 v54, v[54:55] glc
	s_waitcnt vmcnt(0) lgkmcnt(0)
	buffer_gl1_inv
	buffer_gl0_inv
	v_cmpx_ne_u32_e32 0, v54
	s_cbranch_execz .LBB2_513
; %bb.520:                              ;   in Loop: Header=BB2_516 Depth=4
	ds_store_b32 v0, v54
	s_cbranch_execnz .LBB2_861
; %bb.521:                              ;   in Loop: Header=BB2_516 Depth=4
	v_or_b32_e32 v98, 64, v98
	s_xor_b32 s36, exec_lo, -1
	s_branch .LBB2_513
.LBB2_522:                              ;   in Loop: Header=BB2_507 Depth=3
	s_or_b32 exec_lo, exec_lo, s30
	v_and_b32_e32 v54, 4, v98
.LBB2_523:                              ;   in Loop: Header=BB2_507 Depth=3
	s_or_b32 exec_lo, exec_lo, s12
	s_delay_alu instid0(VALU_DEP_1)
	v_cmp_eq_u32_e32 vcc_lo, 0, v54
	;;#ASMSTART
	s_wakeup
	;;#ASMEND
	s_or_not1_b32 s12, vcc_lo, exec_lo
.LBB2_524:                              ;   in Loop: Header=BB2_507 Depth=3
	s_or_b32 exec_lo, exec_lo, s11
	s_xor_b32 s11, s12, -1
	s_delay_alu instid0(SALU_CYCLE_1)
	s_and_saveexec_b32 s12, s11
	s_cbranch_execz .LBB2_534
; %bb.525:                              ;   in Loop: Header=BB2_507 Depth=3
	v_and_b32_e32 v8, 0x100, v98
	v_and_b32_e32 v68, 7, v18
	s_mov_b32 s11, -1
	s_delay_alu instid0(VALU_DEP_2)
	v_cmp_ne_u32_e32 vcc_lo, 0, v8
                                        ; implicit-def: $vgpr8_vgpr9
	s_and_saveexec_b32 s30, vcc_lo
	s_cbranch_execz .LBB2_529
; %bb.526:                              ;   in Loop: Header=BB2_507 Depth=3
	v_mad_u64_u32 v[54:55], null, v68, 24, v[4:5]
	flat_load_b32 v8, v[54:55]
	s_waitcnt vmcnt(0) lgkmcnt(0)
	v_cmp_ne_u32_e32 vcc_lo, 1, v8
	v_cmp_eq_u32_e64 s11, 1, v8
                                        ; implicit-def: $vgpr8_vgpr9
	s_delay_alu instid0(VALU_DEP_1)
	s_and_saveexec_b32 s31, s11
	s_cbranch_execz .LBB2_528
; %bb.527:                              ;   in Loop: Header=BB2_507 Depth=3
	flat_load_b32 v8, v[54:55] offset:4 glc
	s_waitcnt vmcnt(0) lgkmcnt(0)
	v_ashrrev_i32_e32 v9, 31, v8
.LBB2_528:                              ;   in Loop: Header=BB2_507 Depth=3
	s_or_b32 exec_lo, exec_lo, s31
	s_delay_alu instid0(SALU_CYCLE_1)
	s_or_not1_b32 s11, vcc_lo, exec_lo
.LBB2_529:                              ;   in Loop: Header=BB2_507 Depth=3
	s_or_b32 exec_lo, exec_lo, s30
	s_and_saveexec_b32 vcc_lo, s11
; %bb.530:                              ;   in Loop: Header=BB2_507 Depth=3
	v_mad_i64_i32 v[8:9], null, v68, v99, 0
; %bb.531:                              ;   in Loop: Header=BB2_507 Depth=3
	s_or_b32 exec_lo, exec_lo, vcc_lo
	s_delay_alu instid0(VALU_DEP_1) | instskip(SKIP_1) | instid1(VALU_DEP_3)
	v_add_co_u32 v8, vcc_lo, v20, v8
	v_and_b32_e32 v54, 0x2000, v98
	v_add_co_ci_u32_e32 v9, vcc_lo, v21, v9, vcc_lo
	s_mov_b32 s11, exec_lo
	ds_store_b64 v0, v[8:9] offset:720
	v_cmpx_ne_u32_e32 0, v54
	s_cbranch_execz .LBB2_533
; %bb.532:                              ;   in Loop: Header=BB2_507 Depth=3
	ds_load_b64 v[8:9], v0 offset:584
	s_waitcnt lgkmcnt(0)
	v_add_co_u32 v8, vcc_lo, v8, 1
	v_add_co_ci_u32_e32 v9, vcc_lo, 0, v9, vcc_lo
	ds_store_b64 v0, v[8:9] offset:584
.LBB2_533:                              ;   in Loop: Header=BB2_507 Depth=3
	s_or_b32 exec_lo, exec_lo, s11
	v_add_co_u32 v18, vcc_lo, v18, 2
	v_add_co_ci_u32_e32 v19, vcc_lo, 0, v19, vcc_lo
.LBB2_534:                              ;   in Loop: Header=BB2_507 Depth=3
	s_or_b32 exec_lo, exec_lo, s12
	s_and_saveexec_b32 s11, s4
	s_cbranch_execz .LBB2_556
; %bb.535:                              ;   in Loop: Header=BB2_507 Depth=3
	s_and_saveexec_b32 s12, s5
	s_delay_alu instid0(SALU_CYCLE_1)
	s_xor_b32 s12, exec_lo, s12
	s_cbranch_execz .LBB2_553
; %bb.536:                              ;   in Loop: Header=BB2_507 Depth=3
	s_and_saveexec_b32 s30, s2
	s_cbranch_execz .LBB2_552
; %bb.537:                              ;   in Loop: Header=BB2_507 Depth=3
	s_mov_b32 s34, exec_lo
	s_mov_b32 s31, exec_lo
	v_mbcnt_lo_u32_b32 v8, s34, 0
	s_waitcnt lgkmcnt(0)
	s_waitcnt_vscnt null, 0x0
	buffer_gl1_inv
	buffer_gl0_inv
	v_cmpx_eq_u32_e32 0, v8
	s_cbranch_execz .LBB2_539
; %bb.538:                              ;   in Loop: Header=BB2_507 Depth=3
	s_bcnt1_i32_b32 vcc_lo, s34
	s_delay_alu instid0(SALU_CYCLE_1)
	v_dual_mov_b32 v9, v26 :: v_dual_mov_b32 v8, vcc_lo
	ds_add_u64 v0, v[8:9]
	s_cbranch_execnz .LBB2_881
.LBB2_539:                              ;   in Loop: Header=BB2_507 Depth=3
	s_or_b32 exec_lo, exec_lo, s31
	s_cbranch_execnz .LBB2_865
; %bb.540:                              ;   in Loop: Header=BB2_507 Depth=3
	ds_load_b64 v[8:9], v0
	v_add_co_u32 v10, vcc_lo, v10, v101
	v_add_co_ci_u32_e32 v11, vcc_lo, 0, v11, vcc_lo
	s_mov_b32 s31, exec_lo
	s_waitcnt lgkmcnt(0)
	s_delay_alu instid0(VALU_DEP_1)
	v_cmpx_lt_u64_e64 v[8:9], v[10:11]
	s_cbranch_execz .LBB2_551
; %bb.541:                              ;   in Loop: Header=BB2_507 Depth=3
	s_mov_b32 s34, 0
	s_mov_b32 s37, 0
                                        ; implicit-def: $sgpr35
                                        ; implicit-def: $sgpr36
	s_branch .LBB2_543
.LBB2_542:                              ;   in Loop: Header=BB2_543 Depth=4
	s_or_b32 exec_lo, exec_lo, s39
	s_delay_alu instid0(SALU_CYCLE_1) | instskip(NEXT) | instid1(SALU_CYCLE_1)
	s_and_b32 vcc_lo, exec_lo, vcc_lo
	s_or_b32 s34, vcc_lo, s34
	s_and_not1_b32 vcc_lo, s35, exec_lo
	s_and_b32 s35, s36, exec_lo
	s_delay_alu instid0(SALU_CYCLE_1)
	s_or_b32 s35, vcc_lo, s35
	s_and_not1_b32 exec_lo, exec_lo, s34
	s_cbranch_execz .LBB2_549
.LBB2_543:                              ;   Parent Loop BB2_65 Depth=1
                                        ;     Parent Loop BB2_101 Depth=2
                                        ;       Parent Loop BB2_507 Depth=3
                                        ; =>      This Inner Loop Header: Depth=4
	s_add_i32 s37, s37, 1
                                        ; implicit-def: $sgpr39
	s_delay_alu instid0(SALU_CYCLE_1) | instskip(SKIP_1) | instid1(SALU_CYCLE_1)
	s_cmpk_lg_i32 s37, 0x2710
	s_cselect_b32 s38, -1, 0
	s_and_b32 vcc_lo, exec_lo, s38
	s_cbranch_vccz .LBB2_547
.LBB2_544:                              ;   in Loop: Header=BB2_543 Depth=4
	s_and_not1_b32 s36, s36, exec_lo
	s_and_b32 s39, s39, exec_lo
	s_mov_b32 vcc_lo, -1
	s_or_b32 s36, s36, s39
	s_and_saveexec_b32 s39, s38
	s_cbranch_execz .LBB2_542
; %bb.545:                              ;   in Loop: Header=BB2_543 Depth=4
	s_sleep 1
	s_cbranch_execnz .LBB2_905
; %bb.546:                              ;   in Loop: Header=BB2_543 Depth=4
	ds_load_b64 v[8:9], v0
	s_and_not1_b32 s36, s36, exec_lo
	s_waitcnt lgkmcnt(0)
	v_cmp_ge_u64_e32 vcc_lo, v[8:9], v[10:11]
	s_or_not1_b32 vcc_lo, vcc_lo, exec_lo
	s_branch .LBB2_542
.LBB2_547:                              ;   in Loop: Header=BB2_543 Depth=4
	s_cbranch_execnz .LBB2_917
; %bb.548:                              ;   in Loop: Header=BB2_543 Depth=4
	ds_load_b64 v[8:9], v0
	s_and_not1_b32 s38, s38, exec_lo
	s_mov_b32 s37, 0
	s_mov_b32 s39, -1
	s_waitcnt lgkmcnt(0)
	flat_load_b32 v8, v[8:9] glc
	s_waitcnt vmcnt(0) lgkmcnt(0)
	buffer_gl1_inv
	buffer_gl0_inv
	v_cmp_eq_u32_e32 vcc_lo, 0, v8
	s_and_b32 vcc_lo, vcc_lo, exec_lo
	s_delay_alu instid0(SALU_CYCLE_1)
	s_or_b32 s38, s38, vcc_lo
	s_branch .LBB2_544
.LBB2_549:                              ;   in Loop: Header=BB2_507 Depth=3
	s_or_b32 exec_lo, exec_lo, s34
	s_and_saveexec_b32 vcc_lo, s35
	s_delay_alu instid0(SALU_CYCLE_1)
	s_xor_b32 vcc_lo, exec_lo, vcc_lo
	s_cbranch_execz .LBB2_551
; %bb.550:                              ;   in Loop: Header=BB2_507 Depth=3
	ds_store_b32 v0, v130
	s_cbranch_execnz .LBB2_969
.LBB2_551:                              ;   in Loop: Header=BB2_507 Depth=3
	s_or_b32 exec_lo, exec_lo, s31
	;;#ASMSTART
	s_wakeup
	;;#ASMEND
.LBB2_552:                              ;   in Loop: Header=BB2_507 Depth=3
	s_or_b32 exec_lo, exec_lo, s30
.LBB2_553:                              ;   in Loop: Header=BB2_507 Depth=3
	s_and_not1_saveexec_b32 s12, s12
	s_cbranch_execz .LBB2_555
; %bb.554:                              ;   in Loop: Header=BB2_507 Depth=3
	s_waitcnt lgkmcnt(0)
	s_waitcnt_vscnt null, 0x0
	buffer_gl1_inv
	buffer_gl0_inv
	s_barrier
.LBB2_555:                              ;   in Loop: Header=BB2_507 Depth=3
	s_or_b32 exec_lo, exec_lo, s12
.LBB2_556:                              ;   in Loop: Header=BB2_507 Depth=3
	s_delay_alu instid0(SALU_CYCLE_1)
	s_or_b32 exec_lo, exec_lo, s11
	s_cbranch_execnz .LBB2_791
; %bb.557:                              ;   in Loop: Header=BB2_507 Depth=3
	ds_load_b32 v8, v0
	v_and_b32_e32 v9, 0x4000, v98
	s_xor_b32 s11, s3, -1
	s_delay_alu instid0(VALU_DEP_1) | instskip(SKIP_1) | instid1(SALU_CYCLE_1)
	v_cmp_ne_u32_e32 vcc_lo, 0, v9
	s_and_b32 s12, s11, vcc_lo
	s_and_saveexec_b32 s11, s12
	s_cbranch_execz .LBB2_579
; %bb.558:                              ;   in Loop: Header=BB2_507 Depth=3
	s_and_saveexec_b32 s12, s5
	s_delay_alu instid0(SALU_CYCLE_1)
	s_xor_b32 s12, exec_lo, s12
	s_cbranch_execz .LBB2_576
; %bb.559:                              ;   in Loop: Header=BB2_507 Depth=3
	s_and_saveexec_b32 s30, s2
	s_cbranch_execz .LBB2_575
; %bb.560:                              ;   in Loop: Header=BB2_507 Depth=3
	s_mov_b32 s34, exec_lo
	s_mov_b32 s31, exec_lo
	v_mbcnt_lo_u32_b32 v9, s34, 0
	s_waitcnt lgkmcnt(0)
	s_waitcnt_vscnt null, 0x0
	buffer_gl1_inv
	buffer_gl0_inv
	v_cmpx_eq_u32_e32 0, v9
	s_cbranch_execz .LBB2_562
; %bb.561:                              ;   in Loop: Header=BB2_507 Depth=3
	s_bcnt1_i32_b32 vcc_lo, s34
	s_delay_alu instid0(SALU_CYCLE_1)
	v_dual_mov_b32 v55, v26 :: v_dual_mov_b32 v54, vcc_lo
	ds_add_u64 v0, v[54:55]
	s_cbranch_execnz .LBB2_899
.LBB2_562:                              ;   in Loop: Header=BB2_507 Depth=3
	s_or_b32 exec_lo, exec_lo, s31
	s_cbranch_execnz .LBB2_891
; %bb.563:                              ;   in Loop: Header=BB2_507 Depth=3
	ds_load_b64 v[54:55], v0
	v_add_co_u32 v10, vcc_lo, v10, v101
	v_add_co_ci_u32_e32 v11, vcc_lo, 0, v11, vcc_lo
	s_mov_b32 s31, exec_lo
	s_waitcnt lgkmcnt(0)
	s_delay_alu instid0(VALU_DEP_1)
	v_cmpx_lt_u64_e64 v[54:55], v[10:11]
	s_cbranch_execz .LBB2_574
; %bb.564:                              ;   in Loop: Header=BB2_507 Depth=3
	s_mov_b32 s34, 0
	s_mov_b32 s37, 0
                                        ; implicit-def: $sgpr35
                                        ; implicit-def: $sgpr36
	s_branch .LBB2_566
.LBB2_565:                              ;   in Loop: Header=BB2_566 Depth=4
	s_or_b32 exec_lo, exec_lo, s39
	s_delay_alu instid0(SALU_CYCLE_1) | instskip(NEXT) | instid1(SALU_CYCLE_1)
	s_and_b32 vcc_lo, exec_lo, vcc_lo
	s_or_b32 s34, vcc_lo, s34
	s_and_not1_b32 vcc_lo, s35, exec_lo
	s_and_b32 s35, s36, exec_lo
	s_delay_alu instid0(SALU_CYCLE_1)
	s_or_b32 s35, vcc_lo, s35
	s_and_not1_b32 exec_lo, exec_lo, s34
	s_cbranch_execz .LBB2_572
.LBB2_566:                              ;   Parent Loop BB2_65 Depth=1
                                        ;     Parent Loop BB2_101 Depth=2
                                        ;       Parent Loop BB2_507 Depth=3
                                        ; =>      This Inner Loop Header: Depth=4
	s_add_i32 s37, s37, 1
                                        ; implicit-def: $sgpr39
	s_delay_alu instid0(SALU_CYCLE_1) | instskip(SKIP_1) | instid1(SALU_CYCLE_1)
	s_cmpk_lg_i32 s37, 0x2710
	s_cselect_b32 s38, -1, 0
	s_and_b32 vcc_lo, exec_lo, s38
	s_cbranch_vccz .LBB2_570
.LBB2_567:                              ;   in Loop: Header=BB2_566 Depth=4
	s_and_not1_b32 s36, s36, exec_lo
	s_and_b32 s39, s39, exec_lo
	s_mov_b32 vcc_lo, -1
	s_or_b32 s36, s36, s39
	s_and_saveexec_b32 s39, s38
	s_cbranch_execz .LBB2_565
; %bb.568:                              ;   in Loop: Header=BB2_566 Depth=4
	s_sleep 1
	s_cbranch_execnz .LBB2_933
; %bb.569:                              ;   in Loop: Header=BB2_566 Depth=4
	ds_load_b64 v[54:55], v0
	s_and_not1_b32 s36, s36, exec_lo
	s_waitcnt lgkmcnt(0)
	v_cmp_ge_u64_e32 vcc_lo, v[54:55], v[10:11]
	s_or_not1_b32 vcc_lo, vcc_lo, exec_lo
	s_branch .LBB2_565
.LBB2_570:                              ;   in Loop: Header=BB2_566 Depth=4
	s_cbranch_execnz .LBB2_941
; %bb.571:                              ;   in Loop: Header=BB2_566 Depth=4
	ds_load_b64 v[54:55], v0
	s_and_not1_b32 s38, s38, exec_lo
	s_mov_b32 s37, 0
	s_mov_b32 s39, -1
	s_waitcnt lgkmcnt(0)
	flat_load_b32 v9, v[54:55] glc
	s_waitcnt vmcnt(0) lgkmcnt(0)
	buffer_gl1_inv
	buffer_gl0_inv
	v_cmp_eq_u32_e32 vcc_lo, 0, v9
	s_and_b32 vcc_lo, vcc_lo, exec_lo
	s_delay_alu instid0(SALU_CYCLE_1)
	s_or_b32 s38, s38, vcc_lo
	s_branch .LBB2_567
.LBB2_572:                              ;   in Loop: Header=BB2_507 Depth=3
	s_or_b32 exec_lo, exec_lo, s34
	s_and_saveexec_b32 vcc_lo, s35
	s_delay_alu instid0(SALU_CYCLE_1)
	s_xor_b32 vcc_lo, exec_lo, vcc_lo
	s_cbranch_execz .LBB2_574
; %bb.573:                              ;   in Loop: Header=BB2_507 Depth=3
	ds_store_b32 v0, v130
	s_cbranch_execnz .LBB2_977
.LBB2_574:                              ;   in Loop: Header=BB2_507 Depth=3
	s_or_b32 exec_lo, exec_lo, s31
	;;#ASMSTART
	s_wakeup
	;;#ASMEND
.LBB2_575:                              ;   in Loop: Header=BB2_507 Depth=3
	s_or_b32 exec_lo, exec_lo, s30
.LBB2_576:                              ;   in Loop: Header=BB2_507 Depth=3
	s_and_not1_saveexec_b32 s12, s12
	s_cbranch_execz .LBB2_578
; %bb.577:                              ;   in Loop: Header=BB2_507 Depth=3
	s_waitcnt lgkmcnt(0)
	s_waitcnt_vscnt null, 0x0
	buffer_gl1_inv
	buffer_gl0_inv
	s_barrier
.LBB2_578:                              ;   in Loop: Header=BB2_507 Depth=3
	s_or_b32 exec_lo, exec_lo, s12
.LBB2_579:                              ;   in Loop: Header=BB2_507 Depth=3
	s_delay_alu instid0(SALU_CYCLE_1)
	s_or_b32 exec_lo, exec_lo, s11
	s_cbranch_execnz .LBB2_823
; %bb.580:                              ;   in Loop: Header=BB2_507 Depth=3
	ds_load_b64 v[54:55], v0
	v_sub_nc_u32_e32 v9, v27, v65
	v_mov_b32_e32 v68, 0
	s_delay_alu instid0(VALU_DEP_2) | instskip(SKIP_3) | instid1(SALU_CYCLE_1)
	v_min_i32_e32 v64, v64, v9
	s_waitcnt lgkmcnt(0)
	v_cmp_eq_u64_e32 vcc_lo, 0, v[54:55]
	s_or_b32 s11, vcc_lo, vcc_lo
	s_and_b32 vcc_lo, exec_lo, s11
	s_cbranch_vccnz .LBB2_614
; %bb.581:                              ;   in Loop: Header=BB2_507 Depth=3
	s_mov_b32 s11, -1
	s_and_saveexec_b32 s12, s6
	s_cbranch_execz .LBB2_583
; %bb.582:                              ;   in Loop: Header=BB2_507 Depth=3
	ds_load_b32 v9, v0 offset:720
	s_waitcnt lgkmcnt(0)
	v_and_b32_e32 v9, 15, v9
	s_delay_alu instid0(VALU_DEP_1)
	v_cmp_eq_u32_e32 vcc_lo, 0, v9
	s_or_not1_b32 s11, vcc_lo, exec_lo
.LBB2_583:                              ;   in Loop: Header=BB2_507 Depth=3
	s_or_b32 exec_lo, exec_lo, s12
	s_and_saveexec_b32 s12, s1
	s_cbranch_execz .LBB2_585
; %bb.584:                              ;   in Loop: Header=BB2_507 Depth=3
	ds_load_b32 v9, v0 offset:784
	s_waitcnt lgkmcnt(0)
	v_and_b32_e32 v9, 15, v9
	s_delay_alu instid0(VALU_DEP_1) | instskip(SKIP_3) | instid1(SALU_CYCLE_1)
	v_cmp_eq_u32_e32 vcc_lo, 0, v9
	s_and_b32 vcc_lo, s11, vcc_lo
	s_and_not1_b32 s11, s11, exec_lo
	s_and_b32 vcc_lo, vcc_lo, exec_lo
	s_or_b32 s11, s11, vcc_lo
.LBB2_585:                              ;   in Loop: Header=BB2_507 Depth=3
	s_or_b32 exec_lo, exec_lo, s12
	v_cmp_eq_u32_e32 vcc_lo, 0, v8
	s_xor_b32 s11, s11, -1
	v_mov_b32_e32 v71, v0
	v_cndmask_b32_e64 v9, 0, 1, s11
	;;#ASMSTART
	;;#ASMEND
	v_dual_cndmask_b32 v68, 0, v64 :: v_dual_mov_b32 v69, 0
	s_delay_alu instid0(VALU_DEP_2) | instskip(SKIP_2) | instid1(VALU_DEP_3)
	v_cmp_ne_u32_e32 vcc_lo, 0, v9
	v_mov_b32_e32 v82, v36
	s_mov_b32 s11, -1
	v_mov_b32_e32 v70, v68
	s_cbranch_vccnz .LBB2_601
; %bb.586:                              ;   in Loop: Header=BB2_507 Depth=3
	v_ashrrev_i32_e32 v8, 31, v68
	s_mov_b32 s12, exec_lo
	s_delay_alu instid0(VALU_DEP_1) | instskip(NEXT) | instid1(VALU_DEP_1)
	v_lshrrev_b32_e32 v8, 22, v8
	v_add_nc_u32_e32 v8, v68, v8
	s_delay_alu instid0(VALU_DEP_1) | instskip(NEXT) | instid1(VALU_DEP_1)
	v_ashrrev_i32_e32 v69, 10, v8
	v_sub_nc_u32_e32 v80, v69, v36
	s_delay_alu instid0(VALU_DEP_1)
	v_cmpx_lt_i32_e32 0, v80
	s_cbranch_execz .LBB2_591
; %bb.587:                              ;   in Loop: Header=BB2_507 Depth=3
	s_cbranch_execnz .LBB2_921
; %bb.588:                              ;   in Loop: Header=BB2_507 Depth=3
	ds_load_b64 v[8:9], v0
	v_dual_mov_b32 v55, v49 :: v_dual_mov_b32 v54, v48
	s_mov_b32 s30, 0
.LBB2_589:                              ;   Parent Loop BB2_65 Depth=1
                                        ;     Parent Loop BB2_101 Depth=2
                                        ;       Parent Loop BB2_507 Depth=3
                                        ; =>      This Inner Loop Header: Depth=4
	s_waitcnt lgkmcnt(0)
	s_delay_alu instid0(VALU_DEP_1) | instskip(NEXT) | instid1(VALU_DEP_2)
	v_add_co_u32 v70, vcc_lo, v8, v54
	v_add_co_ci_u32_e32 v71, vcc_lo, v9, v55, vcc_lo
	v_sub_nc_u32_e32 v80, v80, v101
	v_add_co_u32 v54, s11, v54, v103
	s_clause 0x1
	global_load_b128 v[81:84], v[70:71], off slc dlc
	global_load_b128 v[144:147], v[70:71], off offset:512 slc dlc
	v_add_co_ci_u32_e64 v55, s11, v55, v112, s11
	v_cmp_gt_i32_e32 vcc_lo, 1, v80
	s_waitcnt vmcnt(1)
	global_store_b128 v[70:71], v[81:84], off glc slc dlc
	s_waitcnt vmcnt(0)
	global_store_b128 v[70:71], v[144:147], off offset:512 glc slc dlc
	s_or_b32 s30, vcc_lo, s30
	s_delay_alu instid0(SALU_CYCLE_1)
	s_and_not1_b32 exec_lo, exec_lo, s30
	s_cbranch_execnz .LBB2_589
; %bb.590:                              ;   in Loop: Header=BB2_507 Depth=3
	s_or_b32 exec_lo, exec_lo, s30
.LBB2_591:                              ;   in Loop: Header=BB2_507 Depth=3
	s_delay_alu instid0(SALU_CYCLE_1) | instskip(SKIP_3) | instid1(VALU_DEP_1)
	s_or_b32 exec_lo, exec_lo, s12
	v_dual_mov_b32 v69, 0 :: v_dual_lshlrev_b32 v54, 10, v69
	s_mov_b32 s11, 0
	s_mov_b32 s30, exec_lo
                                        ; implicit-def: $vgpr70
                                        ; implicit-def: $vgpr71
                                        ; implicit-def: $vgpr82
	v_cmpx_ne_u32_e64 v68, v54
	s_cbranch_execz .LBB2_600
; %bb.592:                              ;   in Loop: Header=BB2_507 Depth=3
	v_lshlrev_b32_e32 v8, 5, v80
	v_sub_nc_u32_e32 v69, v68, v54
	s_mov_b32 s31, exec_lo
	s_delay_alu instid0(VALU_DEP_2) | instskip(NEXT) | instid1(VALU_DEP_2)
	v_sub_nc_u32_e32 v8, v100, v8
	v_ashrrev_i32_e32 v55, 31, v69
	s_delay_alu instid0(VALU_DEP_2) | instskip(NEXT) | instid1(VALU_DEP_2)
	v_ashrrev_i32_e32 v9, 31, v8
	v_lshrrev_b32_e32 v55, 23, v55
	s_delay_alu instid0(VALU_DEP_2) | instskip(NEXT) | instid1(VALU_DEP_2)
	v_lshrrev_b32_e32 v9, 27, v9
	v_add_nc_u32_e32 v71, v69, v55
	s_delay_alu instid0(VALU_DEP_2) | instskip(NEXT) | instid1(VALU_DEP_2)
	v_add_nc_u32_e32 v9, v8, v9
	v_and_b32_e32 v55, 0xfffffe00, v71
	v_ashrrev_i32_e32 v71, 9, v71
	s_delay_alu instid0(VALU_DEP_3) | instskip(NEXT) | instid1(VALU_DEP_3)
	v_and_b32_e32 v70, 0xffffffe0, v9
	v_sub_nc_u32_e32 v81, v69, v55
	s_delay_alu instid0(VALU_DEP_2) | instskip(SKIP_1) | instid1(VALU_DEP_3)
	v_sub_nc_u32_e32 v80, v8, v70
	v_ashrrev_i32_e32 v8, 5, v9
	v_cmp_lt_i32_e32 vcc_lo, 15, v81
	s_delay_alu instid0(VALU_DEP_3) | instskip(NEXT) | instid1(VALU_DEP_1)
	v_lshlrev_b32_e32 v9, 4, v80
	v_lshl_add_u32 v70, v8, 9, v9
	v_add_co_ci_u32_e64 v9, s11, 0, v71, vcc_lo
	s_delay_alu instid0(VALU_DEP_2) | instskip(NEXT) | instid1(VALU_DEP_2)
	v_sub_nc_u32_e32 v69, v69, v70
	v_sub_nc_u32_e32 v83, v9, v8
	s_delay_alu instid0(VALU_DEP_2)
	v_cmpx_lt_i32_e32 15, v69
	s_cbranch_execz .LBB2_597
; %bb.593:                              ;   in Loop: Header=BB2_507 Depth=3
	s_cbranch_execnz .LBB2_949
; %bb.594:                              ;   in Loop: Header=BB2_507 Depth=3
	ds_load_b64 v[8:9], v0
	v_add_nc_u32_e32 v70, v70, v54
	s_mov_b32 s34, 0
	s_delay_alu instid0(VALU_DEP_1)
	v_ashrrev_i32_e32 v71, 31, v70
.LBB2_595:                              ;   Parent Loop BB2_65 Depth=1
                                        ;     Parent Loop BB2_101 Depth=2
                                        ;       Parent Loop BB2_507 Depth=3
                                        ; =>      This Inner Loop Header: Depth=4
	s_waitcnt lgkmcnt(0)
	v_add_co_u32 v144, s11, v8, v70
	s_delay_alu instid0(VALU_DEP_1)
	v_add_co_ci_u32_e64 v145, s11, v9, v71, s11
	v_sub_nc_u32_e32 v69, v69, v102
	v_add_co_u32 v70, s12, v70, v113
	global_load_b128 v[84:87], v[144:145], off slc dlc
	v_sub_nc_u32_e32 v83, v83, v101
	v_cmp_gt_i32_e64 s11, 16, v69
	v_add_co_ci_u32_e64 v71, s12, v71, v114, s12
	s_delay_alu instid0(VALU_DEP_2)
	s_or_b32 s34, s11, s34
	s_waitcnt vmcnt(0)
	global_store_b128 v[144:145], v[84:87], off glc slc dlc
	s_and_not1_b32 exec_lo, exec_lo, s34
	s_cbranch_execnz .LBB2_595
; %bb.596:                              ;   in Loop: Header=BB2_507 Depth=3
	s_or_b32 exec_lo, exec_lo, s34
.LBB2_597:                              ;   in Loop: Header=BB2_507 Depth=3
	s_delay_alu instid0(SALU_CYCLE_1) | instskip(SKIP_3) | instid1(VALU_DEP_1)
	s_or_b32 exec_lo, exec_lo, s31
	v_dual_mov_b32 v69, 0 :: v_dual_and_b32 v8, 15, v68
	s_mov_b32 s12, 0
	s_mov_b32 s31, exec_lo
                                        ; implicit-def: $vgpr71
                                        ; implicit-def: $vgpr82
	v_cndmask_b32_e32 v70, v81, v8, vcc_lo
	s_delay_alu instid0(VALU_DEP_1)
	v_cmpx_ne_u32_e32 0, v70
; %bb.598:                              ;   in Loop: Header=BB2_507 Depth=3
	v_cmp_lt_i32_e64 s11, 0, v83
	v_sub_nc_u32_e32 v8, v81, v8
	s_mov_b32 s12, exec_lo
	s_delay_alu instid0(VALU_DEP_2) | instskip(NEXT) | instid1(VALU_DEP_1)
	v_cndmask_b32_e64 v9, 0, v101, s11
	v_sub_nc_u32_e32 v9, v9, v83
	s_delay_alu instid0(VALU_DEP_1) | instskip(NEXT) | instid1(VALU_DEP_1)
	v_lshl_add_u32 v71, v9, 5, v80
	v_ashrrev_i32_e32 v9, 31, v71
	s_delay_alu instid0(VALU_DEP_1) | instskip(NEXT) | instid1(VALU_DEP_1)
	v_lshrrev_b32_e32 v9, 27, v9
	v_dual_cndmask_b32 v8, 0, v8 :: v_dual_add_nc_u32 v9, v71, v9
	s_delay_alu instid0(VALU_DEP_1) | instskip(NEXT) | instid1(VALU_DEP_2)
	v_add3_u32 v69, v55, v54, v8
	v_ashrrev_i32_e32 v82, 5, v9
; %bb.599:                              ;   in Loop: Header=BB2_507 Depth=3
	s_or_b32 exec_lo, exec_lo, s31
	s_delay_alu instid0(SALU_CYCLE_1)
	s_and_b32 s11, s12, exec_lo
.LBB2_600:                              ;   in Loop: Header=BB2_507 Depth=3
	s_or_b32 exec_lo, exec_lo, s30
.LBB2_601:                              ;   in Loop: Header=BB2_507 Depth=3
	s_and_saveexec_b32 s12, s11
	s_cbranch_execz .LBB2_613
; %bb.602:                              ;   in Loop: Header=BB2_507 Depth=3
	s_delay_alu instid0(VALU_DEP_1) | instskip(SKIP_1) | instid1(VALU_DEP_1)
	v_ashrrev_i32_e32 v8, 31, v70
	s_mov_b32 s11, exec_lo
	v_lshrrev_b32_e32 v8, 24, v8
	s_delay_alu instid0(VALU_DEP_1) | instskip(NEXT) | instid1(VALU_DEP_1)
	v_add_nc_u32_e32 v8, v70, v8
	v_ashrrev_i32_e32 v81, 8, v8
	s_delay_alu instid0(VALU_DEP_1) | instskip(NEXT) | instid1(VALU_DEP_1)
	v_sub_nc_u32_e32 v80, v81, v82
	v_cmpx_lt_i32_e32 0, v80
	s_cbranch_execz .LBB2_607
; %bb.603:                              ;   in Loop: Header=BB2_507 Depth=3
	s_cbranch_execnz .LBB2_911
; %bb.604:                              ;   in Loop: Header=BB2_507 Depth=3
	v_ashrrev_i32_e32 v8, 31, v71
	s_mov_b32 s30, 0
	s_delay_alu instid0(VALU_DEP_1) | instskip(NEXT) | instid1(VALU_DEP_1)
	v_lshrrev_b32_e32 v8, 27, v8
	v_add_nc_u32_e32 v54, v71, v8
	ds_load_b64 v[8:9], v0
	v_lshlrev_b32_e32 v55, 8, v82
	v_and_b32_e32 v54, 0xffffffe0, v54
	s_delay_alu instid0(VALU_DEP_1) | instskip(NEXT) | instid1(VALU_DEP_1)
	v_sub_nc_u32_e32 v54, v71, v54
	v_add3_u32 v82, v69, v54, v55
	s_delay_alu instid0(VALU_DEP_1)
	v_ashrrev_i32_e32 v83, 31, v82
	s_waitcnt lgkmcnt(0)
	v_dual_mov_b32 v55, v9 :: v_dual_mov_b32 v54, v8
.LBB2_605:                              ;   Parent Loop BB2_65 Depth=1
                                        ;     Parent Loop BB2_101 Depth=2
                                        ;       Parent Loop BB2_507 Depth=3
                                        ; =>      This Inner Loop Header: Depth=4
	s_delay_alu instid0(VALU_DEP_1) | instskip(NEXT) | instid1(VALU_DEP_2)
	v_add_co_u32 v84, vcc_lo, v82, v54
	v_add_co_ci_u32_e32 v85, vcc_lo, v83, v55, vcc_lo
	v_sub_nc_u32_e32 v80, v80, v101
	s_clause 0x7
	flat_load_u8 v86, v[84:85] slc dlc
	flat_load_u8 v87, v[84:85] offset:32 slc dlc
	flat_load_u8 v135, v[84:85] offset:64 slc dlc
	;; [unrolled: 1-line block ×7, first 2 shown]
	v_add_co_u32 v84, vcc_lo, v82, v8
	v_add_co_ci_u32_e32 v85, vcc_lo, v83, v9, vcc_lo
	v_add_co_u32 v54, vcc_lo, v54, v115
	v_add_co_ci_u32_e32 v55, vcc_lo, v55, v116, vcc_lo
	;; [unrolled: 2-line block ×3, first 2 shown]
	v_cmp_gt_i32_e32 vcc_lo, 1, v80
	s_waitcnt vmcnt(7) lgkmcnt(7)
	flat_store_b8 v[84:85], v86 glc slc dlc
	s_waitcnt vmcnt(6) lgkmcnt(7)
	flat_store_b8 v[84:85], v87 offset:32 glc slc dlc
	s_waitcnt vmcnt(5) lgkmcnt(7)
	flat_store_b8 v[84:85], v135 offset:64 glc slc dlc
	;; [unrolled: 2-line block ×7, first 2 shown]
	s_or_b32 s30, vcc_lo, s30
	s_delay_alu instid0(SALU_CYCLE_1)
	s_and_not1_b32 exec_lo, exec_lo, s30
	s_cbranch_execnz .LBB2_605
; %bb.606:                              ;   in Loop: Header=BB2_507 Depth=3
	s_or_b32 exec_lo, exec_lo, s30
.LBB2_607:                              ;   in Loop: Header=BB2_507 Depth=3
	s_delay_alu instid0(SALU_CYCLE_1) | instskip(SKIP_2) | instid1(VALU_DEP_1)
	s_or_b32 exec_lo, exec_lo, s11
	v_lshlrev_b32_e32 v8, 8, v81
	s_mov_b32 s30, exec_lo
	v_cmpx_ne_u32_e64 v70, v8
	s_cbranch_execz .LBB2_612
; %bb.608:                              ;   in Loop: Header=BB2_507 Depth=3
	v_ashrrev_i32_e32 v9, 31, v71
	v_lshlrev_b32_e32 v54, 5, v80
	s_delay_alu instid0(VALU_DEP_2) | instskip(NEXT) | instid1(VALU_DEP_1)
	v_lshrrev_b32_e32 v9, 27, v9
	v_add_nc_u32_e32 v9, v71, v9
	s_delay_alu instid0(VALU_DEP_1) | instskip(NEXT) | instid1(VALU_DEP_1)
	v_and_b32_e32 v9, 0xffffffe0, v9
	v_sub_nc_u32_e32 v9, v71, v9
	s_delay_alu instid0(VALU_DEP_1) | instskip(NEXT) | instid1(VALU_DEP_1)
	v_sub_nc_u32_e32 v9, v9, v54
	v_add_nc_u32_e32 v55, v8, v9
	s_delay_alu instid0(VALU_DEP_1) | instskip(NEXT) | instid1(VALU_DEP_1)
	v_sub_nc_u32_e32 v54, v70, v55
	v_cmp_lt_i32_e32 vcc_lo, 0, v54
	s_and_b32 exec_lo, exec_lo, vcc_lo
	s_cbranch_execz .LBB2_612
; %bb.609:                              ;   in Loop: Header=BB2_507 Depth=3
	s_cbranch_execnz .LBB2_945
; %bb.610:                              ;   in Loop: Header=BB2_507 Depth=3
	ds_load_b64 v[8:9], v0
	v_add_nc_u32_e32 v55, v55, v69
	s_mov_b32 s31, 0
	s_delay_alu instid0(VALU_DEP_1)
	v_ashrrev_i32_e32 v69, 31, v55
.LBB2_611:                              ;   Parent Loop BB2_65 Depth=1
                                        ;     Parent Loop BB2_101 Depth=2
                                        ;       Parent Loop BB2_507 Depth=3
                                        ; =>      This Inner Loop Header: Depth=4
	s_waitcnt lgkmcnt(0)
	v_add_co_u32 v70, vcc_lo, v8, v55
	s_delay_alu instid0(VALU_DEP_2)
	v_add_co_ci_u32_e32 v71, vcc_lo, v9, v69, vcc_lo
	v_sub_nc_u32_e32 v54, v54, v117
	v_add_co_u32 v55, s11, v55, v117
	flat_load_u8 v80, v[70:71] slc dlc
	v_add_co_ci_u32_e64 v69, s11, v69, v118, s11
	v_cmp_gt_i32_e32 vcc_lo, 1, v54
	s_or_b32 s31, vcc_lo, s31
	s_waitcnt vmcnt(0) lgkmcnt(0)
	flat_store_b8 v[70:71], v80 glc slc dlc
	s_and_not1_b32 exec_lo, exec_lo, s31
	s_cbranch_execnz .LBB2_611
.LBB2_612:                              ;   in Loop: Header=BB2_507 Depth=3
	s_or_b32 exec_lo, exec_lo, s30
.LBB2_613:                              ;   in Loop: Header=BB2_507 Depth=3
	s_delay_alu instid0(SALU_CYCLE_1)
	s_or_b32 exec_lo, exec_lo, s12
.LBB2_614:                              ;   in Loop: Header=BB2_507 Depth=3
	s_and_saveexec_b32 s11, s4
	s_cbranch_execz .LBB2_636
; %bb.615:                              ;   in Loop: Header=BB2_507 Depth=3
	s_and_saveexec_b32 s12, s5
	s_delay_alu instid0(SALU_CYCLE_1)
	s_xor_b32 s12, exec_lo, s12
	s_cbranch_execz .LBB2_633
; %bb.616:                              ;   in Loop: Header=BB2_507 Depth=3
	s_and_saveexec_b32 s30, s2
	s_cbranch_execz .LBB2_632
; %bb.617:                              ;   in Loop: Header=BB2_507 Depth=3
	s_mov_b32 s34, exec_lo
	s_mov_b32 s31, exec_lo
	v_mbcnt_lo_u32_b32 v8, s34, 0
	s_waitcnt lgkmcnt(0)
	s_waitcnt_vscnt null, 0x0
	buffer_gl1_inv
	buffer_gl0_inv
	v_cmpx_eq_u32_e32 0, v8
	s_cbranch_execz .LBB2_619
; %bb.618:                              ;   in Loop: Header=BB2_507 Depth=3
	s_bcnt1_i32_b32 vcc_lo, s34
	s_delay_alu instid0(SALU_CYCLE_1)
	v_dual_mov_b32 v9, v26 :: v_dual_mov_b32 v8, vcc_lo
	ds_add_u64 v0, v[8:9]
	s_cbranch_execnz .LBB2_935
.LBB2_619:                              ;   in Loop: Header=BB2_507 Depth=3
	s_or_b32 exec_lo, exec_lo, s31
	s_cbranch_execnz .LBB2_927
; %bb.620:                              ;   in Loop: Header=BB2_507 Depth=3
	ds_load_b64 v[8:9], v0
	v_add_co_u32 v10, vcc_lo, v10, v101
	v_add_co_ci_u32_e32 v11, vcc_lo, 0, v11, vcc_lo
	s_mov_b32 s31, exec_lo
	s_waitcnt lgkmcnt(0)
	s_delay_alu instid0(VALU_DEP_1)
	v_cmpx_lt_u64_e64 v[8:9], v[10:11]
	s_cbranch_execz .LBB2_631
; %bb.621:                              ;   in Loop: Header=BB2_507 Depth=3
	s_mov_b32 s34, 0
	s_mov_b32 s37, 0
                                        ; implicit-def: $sgpr35
                                        ; implicit-def: $sgpr36
	s_branch .LBB2_623
.LBB2_622:                              ;   in Loop: Header=BB2_623 Depth=4
	s_or_b32 exec_lo, exec_lo, s39
	s_delay_alu instid0(SALU_CYCLE_1) | instskip(NEXT) | instid1(SALU_CYCLE_1)
	s_and_b32 vcc_lo, exec_lo, vcc_lo
	s_or_b32 s34, vcc_lo, s34
	s_and_not1_b32 vcc_lo, s35, exec_lo
	s_and_b32 s35, s36, exec_lo
	s_delay_alu instid0(SALU_CYCLE_1)
	s_or_b32 s35, vcc_lo, s35
	s_and_not1_b32 exec_lo, exec_lo, s34
	s_cbranch_execz .LBB2_629
.LBB2_623:                              ;   Parent Loop BB2_65 Depth=1
                                        ;     Parent Loop BB2_101 Depth=2
                                        ;       Parent Loop BB2_507 Depth=3
                                        ; =>      This Inner Loop Header: Depth=4
	s_add_i32 s37, s37, 1
                                        ; implicit-def: $sgpr39
	s_delay_alu instid0(SALU_CYCLE_1) | instskip(SKIP_1) | instid1(SALU_CYCLE_1)
	s_cmpk_lg_i32 s37, 0x2710
	s_cselect_b32 s38, -1, 0
	s_and_b32 vcc_lo, exec_lo, s38
	s_cbranch_vccnz .LBB2_626
; %bb.624:                              ;   in Loop: Header=BB2_623 Depth=4
	s_cbranch_execnz .LBB2_961
; %bb.625:                              ;   in Loop: Header=BB2_623 Depth=4
	ds_load_b64 v[8:9], v0
	s_and_not1_b32 s38, s38, exec_lo
	s_mov_b32 s37, 0
	s_mov_b32 s39, -1
	s_waitcnt lgkmcnt(0)
	flat_load_b32 v8, v[8:9] glc
	s_waitcnt vmcnt(0) lgkmcnt(0)
	buffer_gl1_inv
	buffer_gl0_inv
	v_cmp_eq_u32_e32 vcc_lo, 0, v8
	s_and_b32 vcc_lo, vcc_lo, exec_lo
	s_delay_alu instid0(SALU_CYCLE_1)
	s_or_b32 s38, s38, vcc_lo
.LBB2_626:                              ;   in Loop: Header=BB2_623 Depth=4
	s_and_not1_b32 s36, s36, exec_lo
	s_and_b32 s39, s39, exec_lo
	s_mov_b32 vcc_lo, -1
	s_or_b32 s36, s36, s39
	s_and_saveexec_b32 s39, s38
	s_cbranch_execz .LBB2_622
; %bb.627:                              ;   in Loop: Header=BB2_623 Depth=4
	s_sleep 1
	s_cbranch_execnz .LBB2_955
; %bb.628:                              ;   in Loop: Header=BB2_623 Depth=4
	ds_load_b64 v[8:9], v0
	s_and_not1_b32 s36, s36, exec_lo
	s_waitcnt lgkmcnt(0)
	v_cmp_ge_u64_e32 vcc_lo, v[8:9], v[10:11]
	s_or_not1_b32 vcc_lo, vcc_lo, exec_lo
	s_branch .LBB2_622
.LBB2_629:                              ;   in Loop: Header=BB2_507 Depth=3
	s_or_b32 exec_lo, exec_lo, s34
	s_and_saveexec_b32 vcc_lo, s35
	s_delay_alu instid0(SALU_CYCLE_1)
	s_xor_b32 vcc_lo, exec_lo, vcc_lo
	s_cbranch_execz .LBB2_631
; %bb.630:                              ;   in Loop: Header=BB2_507 Depth=3
	ds_store_b32 v0, v130
	s_cbranch_execnz .LBB2_981
.LBB2_631:                              ;   in Loop: Header=BB2_507 Depth=3
	s_or_b32 exec_lo, exec_lo, s31
	;;#ASMSTART
	s_wakeup
	;;#ASMEND
.LBB2_632:                              ;   in Loop: Header=BB2_507 Depth=3
	s_or_b32 exec_lo, exec_lo, s30
.LBB2_633:                              ;   in Loop: Header=BB2_507 Depth=3
	s_and_not1_saveexec_b32 s12, s12
	s_cbranch_execz .LBB2_635
; %bb.634:                              ;   in Loop: Header=BB2_507 Depth=3
	s_waitcnt lgkmcnt(0)
	s_waitcnt_vscnt null, 0x0
	buffer_gl1_inv
	buffer_gl0_inv
	s_barrier
.LBB2_635:                              ;   in Loop: Header=BB2_507 Depth=3
	s_or_b32 exec_lo, exec_lo, s12
.LBB2_636:                              ;   in Loop: Header=BB2_507 Depth=3
	s_delay_alu instid0(SALU_CYCLE_1) | instskip(SKIP_2) | instid1(VALU_DEP_2)
	s_or_b32 exec_lo, exec_lo, s11
	v_and_b32_e32 v8, 16, v98
	v_cmp_lt_i32_e32 vcc_lo, 0, v68
	v_cmp_ne_u32_e64 s11, 0, v8
	s_delay_alu instid0(VALU_DEP_1) | instskip(NEXT) | instid1(SALU_CYCLE_1)
	s_and_b32 s12, s11, vcc_lo
	s_and_saveexec_b32 s11, s12
	s_cbranch_execz .LBB2_638
; %bb.637:                              ;   in Loop: Header=BB2_507 Depth=3
	s_waitcnt lgkmcnt(0)
	s_waitcnt_vscnt null, 0x0
	buffer_gl1_inv
	buffer_gl0_inv
.LBB2_638:                              ;   in Loop: Header=BB2_507 Depth=3
	s_or_b32 exec_lo, exec_lo, s11
	v_and_b32_e32 v8, 32, v98
	s_mov_b32 s11, exec_lo
	s_delay_alu instid0(VALU_DEP_1)
	v_cmpx_ne_u32_e32 0, v8
	s_cbranch_execz .LBB2_640
; %bb.639:                              ;   in Loop: Header=BB2_507 Depth=3
	v_add_co_u32 v18, vcc_lo, v18, 2
	v_add_co_ci_u32_e32 v19, vcc_lo, 0, v19, vcc_lo
	s_waitcnt lgkmcnt(0)
	s_waitcnt_vscnt null, 0x0
	flat_store_b64 v[16:17], v[18:19]
.LBB2_640:                              ;   in Loop: Header=BB2_507 Depth=3
	s_or_b32 exec_lo, exec_lo, s11
	v_add_nc_u32_e32 v65, v64, v65
	s_xor_b32 s11, s29, -1
	s_mov_b32 s29, 0
	s_delay_alu instid0(VALU_DEP_1) | instskip(SKIP_4) | instid1(SALU_CYCLE_1)
	v_cmp_ge_i32_e32 vcc_lo, v65, v27
	v_mov_b32_e32 v8, vcc_hi
	s_or_b32 s11, s11, vcc_lo
	s_mov_b32 vcc_hi, 2
	s_and_b32 s11, exec_lo, s11
	s_or_b32 s28, s11, s28
	s_delay_alu instid0(SALU_CYCLE_1)
	s_and_not1_b32 exec_lo, exec_lo, s28
	s_cbranch_execnz .LBB2_507
; %bb.641:                              ;   in Loop: Header=BB2_101 Depth=2
	s_or_b32 exec_lo, exec_lo, s28
.LBB2_642:                              ;   in Loop: Header=BB2_101 Depth=2
	s_delay_alu instid0(SALU_CYCLE_1) | instskip(NEXT) | instid1(SALU_CYCLE_1)
	s_or_b32 exec_lo, exec_lo, s27
	s_mov_b32 s12, exec_lo
	v_cmpx_gt_i32_e32 2, v8
	s_cbranch_execz .LBB2_697
; %bb.643:                              ;   in Loop: Header=BB2_101 Depth=2
	v_cmp_eq_u32_e64 s11, 0, v8
	s_mov_b32 s27, 0
.LBB2_644:                              ;   Parent Loop BB2_65 Depth=1
                                        ;     Parent Loop BB2_101 Depth=2
                                        ; =>    This Loop Header: Depth=3
                                        ;         Child Loop BB2_650 Depth 4
                                        ;         Child Loop BB2_677 Depth 4
	v_and_b32_e32 v8, 4, v98
	s_mov_b32 s29, -1
	s_mov_b32 s28, exec_lo
	s_delay_alu instid0(VALU_DEP_1)
	v_cmpx_ne_u32_e32 0, v8
	s_cbranch_execz .LBB2_658
; %bb.645:                              ;   in Loop: Header=BB2_644 Depth=3
	v_add_co_u32 v8, vcc_lo, v18, 2
	v_add_co_ci_u32_e32 v9, vcc_lo, 0, v19, vcc_lo
	v_mov_b32_e32 v54, 1
	s_mov_b32 s29, exec_lo
	s_delay_alu instid0(VALU_DEP_2)
	v_cmpx_lt_u64_e64 v[22:23], v[8:9]
	s_cbranch_execz .LBB2_657
; %bb.646:                              ;   in Loop: Header=BB2_644 Depth=3
	v_mov_b32_e32 v54, 0
	s_mov_b32 vcc_hi, 0
                                        ; implicit-def: $sgpr30
	s_branch .LBB2_650
.LBB2_647:                              ;   in Loop: Header=BB2_650 Depth=4
	s_or_b32 exec_lo, exec_lo, s36
	v_mov_b32_e32 v55, 0
	s_or_not1_b32 s35, s35, exec_lo
.LBB2_648:                              ;   in Loop: Header=BB2_650 Depth=4
	s_or_b32 exec_lo, exec_lo, s34
	s_delay_alu instid0(VALU_DEP_1) | instskip(SKIP_2) | instid1(SALU_CYCLE_1)
	v_mov_b32_e32 v54, v55
	s_and_not1_b32 vcc_lo, s30, exec_lo
	s_and_b32 s30, s35, exec_lo
	s_or_b32 s30, vcc_lo, s30
.LBB2_649:                              ;   in Loop: Header=BB2_650 Depth=4
	s_or_b32 exec_lo, exec_lo, s31
	s_waitcnt vmcnt(0) lgkmcnt(0)
	v_cmp_ge_u64_e32 vcc_lo, v[22:23], v[8:9]
	s_xor_b32 s31, s30, -1
	s_delay_alu instid0(SALU_CYCLE_1) | instskip(NEXT) | instid1(SALU_CYCLE_1)
	s_or_b32 vcc_lo, s31, vcc_lo
	s_and_b32 vcc_lo, exec_lo, vcc_lo
	s_delay_alu instid0(SALU_CYCLE_1) | instskip(NEXT) | instid1(SALU_CYCLE_1)
	s_or_b32 vcc_hi, vcc_lo, vcc_hi
	s_and_not1_b32 exec_lo, exec_lo, vcc_hi
	s_cbranch_execz .LBB2_656
.LBB2_650:                              ;   Parent Loop BB2_65 Depth=1
                                        ;     Parent Loop BB2_101 Depth=2
                                        ;       Parent Loop BB2_644 Depth=3
                                        ; =>      This Inner Loop Header: Depth=4
	s_sleep 1
	flat_load_b64 v[22:23], v[16:17] glc
	v_and_b32_e32 v55, 64, v98
	s_and_not1_b32 s30, s30, exec_lo
	s_mov_b32 s31, exec_lo
	s_delay_alu instid0(VALU_DEP_1)
	v_cmpx_eq_u32_e32 0, v55
	s_cbranch_execz .LBB2_649
; %bb.651:                              ;   in Loop: Header=BB2_650 Depth=4
	v_add_nc_u32_e32 v55, 1, v54
	s_mov_b32 s35, -1
	s_mov_b32 s34, exec_lo
	v_cmpx_lt_i32_e32 0x270e, v54
	s_cbranch_execz .LBB2_648
; %bb.652:                              ;   in Loop: Header=BB2_650 Depth=4
	s_cbranch_execnz .LBB2_825
; %bb.653:                              ;   in Loop: Header=BB2_650 Depth=4
	ds_load_b64 v[54:55], v0
	s_mov_b32 s36, exec_lo
	s_waitcnt vmcnt(0) lgkmcnt(0)
	s_waitcnt_vscnt null, 0x0
	flat_load_b32 v54, v[54:55] glc
	s_waitcnt vmcnt(0) lgkmcnt(0)
	buffer_gl1_inv
	buffer_gl0_inv
	v_cmpx_ne_u32_e32 0, v54
	s_cbranch_execz .LBB2_647
; %bb.654:                              ;   in Loop: Header=BB2_650 Depth=4
	ds_store_b32 v0, v54
	s_cbranch_execnz .LBB2_863
; %bb.655:                              ;   in Loop: Header=BB2_650 Depth=4
	v_or_b32_e32 v98, 64, v98
	s_xor_b32 s35, exec_lo, -1
	s_branch .LBB2_647
.LBB2_656:                              ;   in Loop: Header=BB2_644 Depth=3
	s_or_b32 exec_lo, exec_lo, vcc_hi
	v_and_b32_e32 v54, 4, v98
.LBB2_657:                              ;   in Loop: Header=BB2_644 Depth=3
	s_or_b32 exec_lo, exec_lo, s29
	s_delay_alu instid0(VALU_DEP_1)
	v_cmp_eq_u32_e32 vcc_lo, 0, v54
	;;#ASMSTART
	s_wakeup
	;;#ASMEND
	s_or_not1_b32 s29, vcc_lo, exec_lo
.LBB2_658:                              ;   in Loop: Header=BB2_644 Depth=3
	s_or_b32 exec_lo, exec_lo, s28
	s_xor_b32 s11, s11, -1
	s_delay_alu instid0(SALU_CYCLE_1) | instskip(NEXT) | instid1(SALU_CYCLE_1)
	s_and_b32 s11, exec_lo, s11
	s_or_b32 s27, s11, s27
	s_xor_b32 s11, s29, -1
	s_delay_alu instid0(SALU_CYCLE_1)
	s_and_saveexec_b32 s28, s11
	s_cbranch_execz .LBB2_668
; %bb.659:                              ;   in Loop: Header=BB2_644 Depth=3
	v_and_b32_e32 v8, 0x100, v98
	v_and_b32_e32 v66, 7, v18
	s_mov_b32 s11, -1
	s_delay_alu instid0(VALU_DEP_2)
	v_cmp_ne_u32_e32 vcc_lo, 0, v8
                                        ; implicit-def: $vgpr8_vgpr9
	s_and_saveexec_b32 s29, vcc_lo
	s_cbranch_execz .LBB2_663
; %bb.660:                              ;   in Loop: Header=BB2_644 Depth=3
	v_mad_u64_u32 v[54:55], null, v66, 24, v[4:5]
	flat_load_b32 v8, v[54:55]
	s_waitcnt vmcnt(0) lgkmcnt(0)
	v_cmp_ne_u32_e32 vcc_lo, 1, v8
	v_cmp_eq_u32_e64 s11, 1, v8
                                        ; implicit-def: $vgpr8_vgpr9
	s_delay_alu instid0(VALU_DEP_1)
	s_and_saveexec_b32 vcc_hi, s11
	s_cbranch_execz .LBB2_662
; %bb.661:                              ;   in Loop: Header=BB2_644 Depth=3
	flat_load_b32 v8, v[54:55] offset:4 glc
	s_waitcnt vmcnt(0) lgkmcnt(0)
	v_ashrrev_i32_e32 v9, 31, v8
.LBB2_662:                              ;   in Loop: Header=BB2_644 Depth=3
	s_or_b32 exec_lo, exec_lo, vcc_hi
	s_delay_alu instid0(SALU_CYCLE_1)
	s_or_not1_b32 s11, vcc_lo, exec_lo
.LBB2_663:                              ;   in Loop: Header=BB2_644 Depth=3
	s_or_b32 exec_lo, exec_lo, s29
	s_and_saveexec_b32 s29, s11
; %bb.664:                              ;   in Loop: Header=BB2_644 Depth=3
	v_mad_i64_i32 v[8:9], null, v66, v99, 0
; %bb.665:                              ;   in Loop: Header=BB2_644 Depth=3
	s_or_b32 exec_lo, exec_lo, s29
	s_delay_alu instid0(VALU_DEP_1) | instskip(SKIP_1) | instid1(VALU_DEP_3)
	v_add_co_u32 v8, vcc_lo, v20, v8
	v_and_b32_e32 v54, 0x2000, v98
	v_add_co_ci_u32_e32 v9, vcc_lo, v21, v9, vcc_lo
	s_mov_b32 s11, exec_lo
	ds_store_b64 v0, v[8:9] offset:720
	v_cmpx_ne_u32_e32 0, v54
	s_cbranch_execz .LBB2_667
; %bb.666:                              ;   in Loop: Header=BB2_644 Depth=3
	ds_load_b64 v[8:9], v0 offset:584
	s_waitcnt lgkmcnt(0)
	v_add_co_u32 v8, vcc_lo, v8, 1
	v_add_co_ci_u32_e32 v9, vcc_lo, 0, v9, vcc_lo
	ds_store_b64 v0, v[8:9] offset:584
.LBB2_667:                              ;   in Loop: Header=BB2_644 Depth=3
	s_or_b32 exec_lo, exec_lo, s11
	v_add_co_u32 v18, vcc_lo, v18, 2
	v_add_co_ci_u32_e32 v19, vcc_lo, 0, v19, vcc_lo
.LBB2_668:                              ;   in Loop: Header=BB2_644 Depth=3
	s_or_b32 exec_lo, exec_lo, s28
	s_and_saveexec_b32 s11, s4
	s_cbranch_execz .LBB2_690
; %bb.669:                              ;   in Loop: Header=BB2_644 Depth=3
	s_and_saveexec_b32 s28, s5
	s_delay_alu instid0(SALU_CYCLE_1)
	s_xor_b32 s28, exec_lo, s28
	s_cbranch_execz .LBB2_687
; %bb.670:                              ;   in Loop: Header=BB2_644 Depth=3
	s_and_saveexec_b32 s29, s2
	s_cbranch_execz .LBB2_686
; %bb.671:                              ;   in Loop: Header=BB2_644 Depth=3
	s_mov_b32 s30, exec_lo
	s_mov_b32 vcc_hi, exec_lo
	v_mbcnt_lo_u32_b32 v8, s30, 0
	s_waitcnt lgkmcnt(0)
	s_waitcnt_vscnt null, 0x0
	buffer_gl1_inv
	buffer_gl0_inv
	v_cmpx_eq_u32_e32 0, v8
	s_cbranch_execz .LBB2_673
; %bb.672:                              ;   in Loop: Header=BB2_644 Depth=3
	s_bcnt1_i32_b32 vcc_lo, s30
	s_delay_alu instid0(SALU_CYCLE_1)
	v_dual_mov_b32 v9, v26 :: v_dual_mov_b32 v8, vcc_lo
	ds_add_u64 v0, v[8:9]
	s_cbranch_execnz .LBB2_885
.LBB2_673:                              ;   in Loop: Header=BB2_644 Depth=3
	s_or_b32 exec_lo, exec_lo, vcc_hi
	s_cbranch_execnz .LBB2_869
; %bb.674:                              ;   in Loop: Header=BB2_644 Depth=3
	ds_load_b64 v[8:9], v0
	v_add_co_u32 v10, vcc_lo, v10, v101
	v_add_co_ci_u32_e32 v11, vcc_lo, 0, v11, vcc_lo
	s_mov_b32 vcc_hi, exec_lo
	s_waitcnt lgkmcnt(0)
	s_delay_alu instid0(VALU_DEP_1)
	v_cmpx_lt_u64_e64 v[8:9], v[10:11]
	s_cbranch_execz .LBB2_685
; %bb.675:                              ;   in Loop: Header=BB2_644 Depth=3
	s_mov_b32 s30, 0
	s_mov_b32 s35, 0
                                        ; implicit-def: $sgpr31
                                        ; implicit-def: $sgpr34
	s_branch .LBB2_677
.LBB2_676:                              ;   in Loop: Header=BB2_677 Depth=4
	s_or_b32 exec_lo, exec_lo, s37
	s_delay_alu instid0(SALU_CYCLE_1) | instskip(NEXT) | instid1(SALU_CYCLE_1)
	s_and_b32 vcc_lo, exec_lo, vcc_lo
	s_or_b32 s30, vcc_lo, s30
	s_and_not1_b32 vcc_lo, s31, exec_lo
	s_and_b32 s31, s34, exec_lo
	s_delay_alu instid0(SALU_CYCLE_1)
	s_or_b32 s31, vcc_lo, s31
	s_and_not1_b32 exec_lo, exec_lo, s30
	s_cbranch_execz .LBB2_683
.LBB2_677:                              ;   Parent Loop BB2_65 Depth=1
                                        ;     Parent Loop BB2_101 Depth=2
                                        ;       Parent Loop BB2_644 Depth=3
                                        ; =>      This Inner Loop Header: Depth=4
	s_add_i32 s35, s35, 1
                                        ; implicit-def: $sgpr37
	s_delay_alu instid0(SALU_CYCLE_1) | instskip(SKIP_1) | instid1(SALU_CYCLE_1)
	s_cmpk_lg_i32 s35, 0x2710
	s_cselect_b32 s36, -1, 0
	s_and_b32 vcc_lo, exec_lo, s36
	s_cbranch_vccz .LBB2_681
.LBB2_678:                              ;   in Loop: Header=BB2_677 Depth=4
	s_and_not1_b32 s34, s34, exec_lo
	s_and_b32 s37, s37, exec_lo
	s_mov_b32 vcc_lo, -1
	s_or_b32 s34, s34, s37
	s_and_saveexec_b32 s37, s36
	s_cbranch_execz .LBB2_676
; %bb.679:                              ;   in Loop: Header=BB2_677 Depth=4
	s_sleep 1
	s_cbranch_execnz .LBB2_909
; %bb.680:                              ;   in Loop: Header=BB2_677 Depth=4
	ds_load_b64 v[8:9], v0
	s_and_not1_b32 s34, s34, exec_lo
	s_waitcnt lgkmcnt(0)
	v_cmp_ge_u64_e32 vcc_lo, v[8:9], v[10:11]
	s_or_not1_b32 vcc_lo, vcc_lo, exec_lo
	s_branch .LBB2_676
.LBB2_681:                              ;   in Loop: Header=BB2_677 Depth=4
	s_cbranch_execnz .LBB2_923
; %bb.682:                              ;   in Loop: Header=BB2_677 Depth=4
	ds_load_b64 v[8:9], v0
	s_and_not1_b32 s36, s36, exec_lo
	s_mov_b32 s35, 0
	s_mov_b32 s37, -1
	s_waitcnt lgkmcnt(0)
	flat_load_b32 v8, v[8:9] glc
	s_waitcnt vmcnt(0) lgkmcnt(0)
	buffer_gl1_inv
	buffer_gl0_inv
	v_cmp_eq_u32_e32 vcc_lo, 0, v8
	s_and_b32 vcc_lo, vcc_lo, exec_lo
	s_delay_alu instid0(SALU_CYCLE_1)
	s_or_b32 s36, s36, vcc_lo
	s_branch .LBB2_678
.LBB2_683:                              ;   in Loop: Header=BB2_644 Depth=3
	s_or_b32 exec_lo, exec_lo, s30
	s_and_saveexec_b32 vcc_lo, s31
	s_delay_alu instid0(SALU_CYCLE_1)
	s_xor_b32 vcc_lo, exec_lo, vcc_lo
	s_cbranch_execz .LBB2_685
; %bb.684:                              ;   in Loop: Header=BB2_644 Depth=3
	ds_store_b32 v0, v130
	s_cbranch_execnz .LBB2_973
.LBB2_685:                              ;   in Loop: Header=BB2_644 Depth=3
	s_or_b32 exec_lo, exec_lo, vcc_hi
	;;#ASMSTART
	s_wakeup
	;;#ASMEND
.LBB2_686:                              ;   in Loop: Header=BB2_644 Depth=3
	s_or_b32 exec_lo, exec_lo, s29
.LBB2_687:                              ;   in Loop: Header=BB2_644 Depth=3
	s_and_not1_saveexec_b32 s28, s28
	s_cbranch_execz .LBB2_689
; %bb.688:                              ;   in Loop: Header=BB2_644 Depth=3
	s_waitcnt lgkmcnt(0)
	s_waitcnt_vscnt null, 0x0
	buffer_gl1_inv
	buffer_gl0_inv
	s_barrier
.LBB2_689:                              ;   in Loop: Header=BB2_644 Depth=3
	s_or_b32 exec_lo, exec_lo, s28
.LBB2_690:                              ;   in Loop: Header=BB2_644 Depth=3
	s_delay_alu instid0(SALU_CYCLE_1)
	s_or_b32 exec_lo, exec_lo, s11
	s_cbranch_execnz .LBB2_799
; %bb.691:                              ;   in Loop: Header=BB2_644 Depth=3
	ds_load_b32 v8, v0
	v_sub_nc_u32_e32 v9, v27, v65
	s_delay_alu instid0(VALU_DEP_1) | instskip(NEXT) | instid1(VALU_DEP_1)
	v_min_i32_e32 v64, v64, v9
	v_cmp_lt_i32_e32 vcc_lo, 0, v64
	s_waitcnt lgkmcnt(0)
	v_readfirstlane_b32 s11, v8
	v_and_b32_e32 v8, 16, v98
	s_delay_alu instid0(VALU_DEP_2) | instskip(NEXT) | instid1(VALU_DEP_1)
	s_cmp_eq_u32 s11, 0
	v_cmp_ne_u32_e64 s11, 0, v8
	s_cselect_b32 s28, -1, 0
	s_delay_alu instid0(SALU_CYCLE_1)
	s_and_b32 s28, vcc_lo, s28
	s_delay_alu instid0(VALU_DEP_1) | instid1(SALU_CYCLE_1)
	s_and_b32 s28, s11, s28
	s_delay_alu instid0(SALU_CYCLE_1)
	s_and_saveexec_b32 s11, s28
	s_cbranch_execz .LBB2_693
; %bb.692:                              ;   in Loop: Header=BB2_644 Depth=3
	s_waitcnt_vscnt null, 0x0
	buffer_gl1_inv
	buffer_gl0_inv
.LBB2_693:                              ;   in Loop: Header=BB2_644 Depth=3
	s_or_b32 exec_lo, exec_lo, s11
	v_and_b32_e32 v8, 32, v98
	s_mov_b32 s11, exec_lo
	s_delay_alu instid0(VALU_DEP_1)
	v_cmpx_ne_u32_e32 0, v8
	s_cbranch_execz .LBB2_695
; %bb.694:                              ;   in Loop: Header=BB2_644 Depth=3
	v_add_co_u32 v18, vcc_lo, v18, 2
	v_add_co_ci_u32_e32 v19, vcc_lo, 0, v19, vcc_lo
	s_waitcnt_vscnt null, 0x0
	flat_store_b64 v[16:17], v[18:19]
.LBB2_695:                              ;   in Loop: Header=BB2_644 Depth=3
	s_or_b32 exec_lo, exec_lo, s11
	v_add_nc_u32_e32 v65, v64, v65
	s_mov_b32 s11, 0
	s_and_not1_b32 exec_lo, exec_lo, s27
	s_cbranch_execnz .LBB2_644
; %bb.696:                              ;   in Loop: Header=BB2_101 Depth=2
	s_or_b32 exec_lo, exec_lo, s27
.LBB2_697:                              ;   in Loop: Header=BB2_101 Depth=2
	s_delay_alu instid0(SALU_CYCLE_1) | instskip(SKIP_2) | instid1(VALU_DEP_1)
	s_or_b32 exec_lo, exec_lo, s12
	v_add_co_u32 v6, vcc_lo, v6, v34
	v_add_co_ci_u32_e32 v7, vcc_lo, 0, v7, vcc_lo
	v_cmp_ge_i64_e32 vcc_lo, v[6:7], v[52:53]
	s_or_b32 s25, vcc_lo, s25
	s_delay_alu instid0(SALU_CYCLE_1)
	s_and_not1_b32 exec_lo, exec_lo, s25
	s_cbranch_execnz .LBB2_101
; %bb.698:                              ;   in Loop: Header=BB2_65 Depth=1
	s_or_b32 exec_lo, exec_lo, s25
.LBB2_699:                              ;   in Loop: Header=BB2_65 Depth=1
	s_delay_alu instid0(SALU_CYCLE_1)
	s_or_b32 exec_lo, exec_lo, s23
.LBB2_700:                              ;   in Loop: Header=BB2_65 Depth=1
	s_delay_alu instid0(SALU_CYCLE_1)
	s_or_b32 exec_lo, exec_lo, s22
	s_add_i32 s11, s14, 1
	s_cmp_eq_u32 s14, s17
	s_cbranch_scc1 .LBB2_716
; %bb.701:                              ;   in Loop: Header=BB2_65 Depth=1
	s_mov_b32 s14, s11
	s_cbranch_execz .LBB2_65
.LBB2_702:
	s_trap 2
	s_sendmsg_rtn_b32 s0, sendmsg(MSG_RTN_GET_DOORBELL)
	s_mov_b32 ttmp2, m0
	s_waitcnt lgkmcnt(0)
	s_and_b32 s0, s0, 0x3ff
	s_delay_alu instid0(SALU_CYCLE_1) | instskip(NEXT) | instid1(SALU_CYCLE_1)
	s_bitset1_b32 s0, 10
	s_mov_b32 m0, s0
	s_sendmsg sendmsg(MSG_INTERRUPT)
	s_mov_b32 m0, ttmp2
.LBB2_703:                              ; =>This Inner Loop Header: Depth=1
	s_sethalt 5
	s_branch .LBB2_703
.LBB2_704:
	s_trap 2
	s_sendmsg_rtn_b32 s0, sendmsg(MSG_RTN_GET_DOORBELL)
	s_mov_b32 ttmp2, m0
	s_waitcnt lgkmcnt(0)
	s_and_b32 s0, s0, 0x3ff
	s_delay_alu instid0(SALU_CYCLE_1) | instskip(NEXT) | instid1(SALU_CYCLE_1)
	s_bitset1_b32 s0, 10
	s_mov_b32 m0, s0
	s_sendmsg sendmsg(MSG_INTERRUPT)
	s_mov_b32 m0, ttmp2
.LBB2_705:                              ; =>This Inner Loop Header: Depth=1
	s_sethalt 5
	s_branch .LBB2_705
.LBB2_706:
	s_trap 2
	s_sendmsg_rtn_b32 s0, sendmsg(MSG_RTN_GET_DOORBELL)
	s_mov_b32 ttmp2, m0
	s_waitcnt lgkmcnt(0)
	s_and_b32 s0, s0, 0x3ff
	s_delay_alu instid0(SALU_CYCLE_1) | instskip(NEXT) | instid1(SALU_CYCLE_1)
	s_bitset1_b32 s0, 10
	s_mov_b32 m0, s0
	s_sendmsg sendmsg(MSG_INTERRUPT)
	s_mov_b32 m0, ttmp2
.LBB2_707:                              ; =>This Inner Loop Header: Depth=1
	s_sethalt 5
	s_branch .LBB2_707
.LBB2_708:
	s_trap 2
	s_sendmsg_rtn_b32 s0, sendmsg(MSG_RTN_GET_DOORBELL)
	s_mov_b32 ttmp2, m0
	s_waitcnt lgkmcnt(0)
	s_and_b32 s0, s0, 0x3ff
	s_delay_alu instid0(SALU_CYCLE_1) | instskip(NEXT) | instid1(SALU_CYCLE_1)
	s_bitset1_b32 s0, 10
	s_mov_b32 m0, s0
	s_sendmsg sendmsg(MSG_INTERRUPT)
	s_mov_b32 m0, ttmp2
.LBB2_709:                              ; =>This Inner Loop Header: Depth=1
	s_sethalt 5
	s_branch .LBB2_709
.LBB2_710:
	s_trap 2
	s_sendmsg_rtn_b32 s0, sendmsg(MSG_RTN_GET_DOORBELL)
	s_mov_b32 ttmp2, m0
	s_waitcnt lgkmcnt(0)
	s_and_b32 s0, s0, 0x3ff
	s_delay_alu instid0(SALU_CYCLE_1) | instskip(NEXT) | instid1(SALU_CYCLE_1)
	s_bitset1_b32 s0, 10
	s_mov_b32 m0, s0
	s_sendmsg sendmsg(MSG_INTERRUPT)
	s_mov_b32 m0, ttmp2
.LBB2_711:                              ; =>This Inner Loop Header: Depth=1
	s_sethalt 5
	s_branch .LBB2_711
.LBB2_712:
	s_trap 2
	s_sendmsg_rtn_b32 s0, sendmsg(MSG_RTN_GET_DOORBELL)
	s_mov_b32 ttmp2, m0
	s_waitcnt lgkmcnt(0)
	s_and_b32 s0, s0, 0x3ff
	s_delay_alu instid0(SALU_CYCLE_1) | instskip(NEXT) | instid1(SALU_CYCLE_1)
	s_bitset1_b32 s0, 10
	s_mov_b32 m0, s0
	s_sendmsg sendmsg(MSG_INTERRUPT)
	s_mov_b32 m0, ttmp2
.LBB2_713:                              ; =>This Inner Loop Header: Depth=1
	s_sethalt 5
	s_branch .LBB2_713
.LBB2_714:
	s_trap 2
	s_sendmsg_rtn_b32 s0, sendmsg(MSG_RTN_GET_DOORBELL)
	s_mov_b32 ttmp2, m0
	s_waitcnt lgkmcnt(0)
	s_and_b32 s0, s0, 0x3ff
	s_delay_alu instid0(SALU_CYCLE_1) | instskip(NEXT) | instid1(SALU_CYCLE_1)
	s_bitset1_b32 s0, 10
	s_mov_b32 m0, s0
	s_sendmsg sendmsg(MSG_INTERRUPT)
	s_mov_b32 m0, ttmp2
.LBB2_715:                              ; =>This Inner Loop Header: Depth=1
	s_sethalt 5
	s_branch .LBB2_715
.LBB2_716:
	v_and_b32_e32 v0, 0x800, v98
	s_mov_b32 s0, exec_lo
	s_delay_alu instid0(VALU_DEP_1)
	v_cmpx_eq_u32_e32 0, v0
	s_cbranch_execz .LBB2_853
; %bb.717:
	v_and_b32_e32 v0, 48, v98
	s_mov_b32 s1, exec_lo
	s_delay_alu instid0(VALU_DEP_1)
	v_cmpx_ne_u32_e32 0, v0
	s_cbranch_execz .LBB2_719
; %bb.718:
	flat_store_b64 v[14:15], v[18:19] offset:104
.LBB2_719:
	s_or_b32 exec_lo, exec_lo, s1
	v_and_b32_e32 v0, 0x88, v98
	s_mov_b32 s1, exec_lo
	s_delay_alu instid0(VALU_DEP_1)
	v_cmpx_eq_u32_e32 0x88, v0
	s_cbranch_execz .LBB2_747
; %bb.720:
	v_add_nc_u32_e32 v0, 6, v18
	s_mov_b32 s2, 0
                                        ; implicit-def: $sgpr3
	s_delay_alu instid0(VALU_DEP_1) | instskip(NEXT) | instid1(VALU_DEP_1)
	v_and_b32_e32 v0, 7, v0
	v_mad_u64_u32 v[2:3], null, v0, 24, v[4:5]
	v_mov_b32_e32 v0, 0
	s_delay_alu instid0(VALU_DEP_2) | instskip(NEXT) | instid1(VALU_DEP_3)
	v_add_co_u32 v2, vcc_lo, v2, 8
	v_add_co_ci_u32_e32 v3, vcc_lo, 0, v3, vcc_lo
	s_branch .LBB2_737
.LBB2_721:
	s_trap 2
	s_sendmsg_rtn_b32 s0, sendmsg(MSG_RTN_GET_DOORBELL)
	s_mov_b32 ttmp2, m0
	s_waitcnt lgkmcnt(0)
	s_and_b32 s0, s0, 0x3ff
	s_delay_alu instid0(SALU_CYCLE_1) | instskip(NEXT) | instid1(SALU_CYCLE_1)
	s_bitset1_b32 s0, 10
	s_mov_b32 m0, s0
	s_sendmsg sendmsg(MSG_INTERRUPT)
	s_mov_b32 m0, ttmp2
.LBB2_722:                              ; =>This Inner Loop Header: Depth=1
	s_sethalt 5
	s_branch .LBB2_722
.LBB2_723:
	s_trap 2
	s_sendmsg_rtn_b32 s0, sendmsg(MSG_RTN_GET_DOORBELL)
	s_mov_b32 ttmp2, m0
	s_waitcnt lgkmcnt(0)
	s_and_b32 s0, s0, 0x3ff
	s_delay_alu instid0(SALU_CYCLE_1) | instskip(NEXT) | instid1(SALU_CYCLE_1)
	s_bitset1_b32 s0, 10
	s_mov_b32 m0, s0
	s_sendmsg sendmsg(MSG_INTERRUPT)
	s_mov_b32 m0, ttmp2
.LBB2_724:                              ; =>This Inner Loop Header: Depth=1
	s_sethalt 5
	s_branch .LBB2_724
.LBB2_725:
	s_trap 2
	s_sendmsg_rtn_b32 s0, sendmsg(MSG_RTN_GET_DOORBELL)
	s_mov_b32 ttmp2, m0
	s_waitcnt lgkmcnt(0)
	s_and_b32 s0, s0, 0x3ff
	s_delay_alu instid0(SALU_CYCLE_1) | instskip(NEXT) | instid1(SALU_CYCLE_1)
	s_bitset1_b32 s0, 10
	s_mov_b32 m0, s0
	s_sendmsg sendmsg(MSG_INTERRUPT)
	s_mov_b32 m0, ttmp2
.LBB2_726:                              ; =>This Inner Loop Header: Depth=1
	s_sethalt 5
	s_branch .LBB2_726
.LBB2_727:
	s_trap 2
	s_sendmsg_rtn_b32 s0, sendmsg(MSG_RTN_GET_DOORBELL)
	s_mov_b32 ttmp2, m0
	s_waitcnt lgkmcnt(0)
	s_and_b32 s0, s0, 0x3ff
	s_delay_alu instid0(SALU_CYCLE_1) | instskip(NEXT) | instid1(SALU_CYCLE_1)
	s_bitset1_b32 s0, 10
	s_mov_b32 m0, s0
	s_sendmsg sendmsg(MSG_INTERRUPT)
	s_mov_b32 m0, ttmp2
.LBB2_728:                              ; =>This Inner Loop Header: Depth=1
	s_sethalt 5
	s_branch .LBB2_728
.LBB2_729:
	s_trap 2
	s_sendmsg_rtn_b32 s0, sendmsg(MSG_RTN_GET_DOORBELL)
	s_mov_b32 ttmp2, m0
	s_waitcnt lgkmcnt(0)
	s_and_b32 s0, s0, 0x3ff
	s_delay_alu instid0(SALU_CYCLE_1) | instskip(NEXT) | instid1(SALU_CYCLE_1)
	s_bitset1_b32 s0, 10
	s_mov_b32 m0, s0
	s_sendmsg sendmsg(MSG_INTERRUPT)
	s_mov_b32 m0, ttmp2
.LBB2_730:                              ; =>This Inner Loop Header: Depth=1
	s_sethalt 5
	s_branch .LBB2_730
.LBB2_731:
	s_trap 2
	s_sendmsg_rtn_b32 s0, sendmsg(MSG_RTN_GET_DOORBELL)
	s_mov_b32 ttmp2, m0
	s_waitcnt lgkmcnt(0)
	s_and_b32 s0, s0, 0x3ff
	s_delay_alu instid0(SALU_CYCLE_1) | instskip(NEXT) | instid1(SALU_CYCLE_1)
	s_bitset1_b32 s0, 10
	s_mov_b32 m0, s0
	s_sendmsg sendmsg(MSG_INTERRUPT)
	s_mov_b32 m0, ttmp2
.LBB2_732:                              ; =>This Inner Loop Header: Depth=1
	s_sethalt 5
	s_branch .LBB2_732
.LBB2_733:                              ;   in Loop: Header=BB2_737 Depth=1
	s_or_b32 exec_lo, exec_lo, s10
	v_mov_b32_e32 v4, 0
	s_or_not1_b32 s7, s7, exec_lo
.LBB2_734:                              ;   in Loop: Header=BB2_737 Depth=1
	s_or_b32 exec_lo, exec_lo, s6
	s_delay_alu instid0(VALU_DEP_1)
	v_mov_b32_e32 v0, v4
	s_and_b32 s6, s7, exec_lo
.LBB2_735:                              ;   in Loop: Header=BB2_737 Depth=1
	s_or_b32 exec_lo, exec_lo, s5
	s_xor_b32 s5, s6, -1
	s_and_not1_b32 s3, s3, exec_lo
	s_and_b32 s5, s5, exec_lo
	s_delay_alu instid0(SALU_CYCLE_1)
	s_or_b32 s3, s3, s5
.LBB2_736:                              ;   in Loop: Header=BB2_737 Depth=1
	s_or_b32 exec_lo, exec_lo, s4
	s_delay_alu instid0(SALU_CYCLE_1) | instskip(NEXT) | instid1(SALU_CYCLE_1)
	s_and_b32 s4, exec_lo, s3
	s_or_b32 s2, s4, s2
	s_delay_alu instid0(SALU_CYCLE_1)
	s_and_not1_b32 exec_lo, exec_lo, s2
	s_cbranch_execz .LBB2_746
.LBB2_737:                              ; =>This Inner Loop Header: Depth=1
	flat_load_b64 v[4:5], v[2:3] glc dlc
	s_waitcnt vmcnt(0)
	s_or_b32 s3, s3, exec_lo
	s_mov_b32 s4, exec_lo
	s_waitcnt lgkmcnt(0)
	v_cmpx_ne_u64_e32 -1, v[4:5]
	s_cbranch_execz .LBB2_736
; %bb.738:                              ;   in Loop: Header=BB2_737 Depth=1
	v_and_b32_e32 v4, 64, v98
	s_mov_b32 s6, 0
	s_mov_b32 s5, exec_lo
	s_delay_alu instid0(VALU_DEP_1)
	v_cmpx_eq_u32_e32 0, v4
	s_cbranch_execz .LBB2_735
; %bb.739:                              ;   in Loop: Header=BB2_737 Depth=1
	v_add_nc_u32_e32 v4, 1, v0
	s_mov_b32 s7, -1
	s_mov_b32 s6, exec_lo
	v_cmpx_lt_i32_e32 0x270e, v0
	s_cbranch_execz .LBB2_734
; %bb.740:                              ;   in Loop: Header=BB2_737 Depth=1
	s_cbranch_execnz .LBB2_744
; %bb.741:                              ;   in Loop: Header=BB2_737 Depth=1
	ds_load_b64 v[4:5], v0
	s_mov_b32 s10, exec_lo
	s_waitcnt lgkmcnt(0)
	s_waitcnt_vscnt null, 0x0
	flat_load_b32 v0, v[4:5] glc
	s_waitcnt vmcnt(0) lgkmcnt(0)
	buffer_gl1_inv
	buffer_gl0_inv
	v_cmpx_ne_u32_e32 0, v0
	s_cbranch_execz .LBB2_733
; %bb.742:                              ;   in Loop: Header=BB2_737 Depth=1
	ds_store_b32 v0, v0
	s_cbranch_execnz .LBB2_760
; %bb.743:                              ;   in Loop: Header=BB2_737 Depth=1
	v_or_b32_e32 v98, 64, v98
	s_xor_b32 s7, exec_lo, -1
	s_branch .LBB2_733
.LBB2_744:
	s_trap 2
	s_sendmsg_rtn_b32 s0, sendmsg(MSG_RTN_GET_DOORBELL)
	s_mov_b32 ttmp2, m0
	s_waitcnt lgkmcnt(0)
	s_and_b32 s0, s0, 0x3ff
	s_delay_alu instid0(SALU_CYCLE_1) | instskip(NEXT) | instid1(SALU_CYCLE_1)
	s_bitset1_b32 s0, 10
	s_mov_b32 m0, s0
	s_sendmsg sendmsg(MSG_INTERRUPT)
	s_mov_b32 m0, ttmp2
.LBB2_745:                              ; =>This Inner Loop Header: Depth=1
	s_sethalt 5
	s_branch .LBB2_745
.LBB2_746:
	s_or_b32 exec_lo, exec_lo, s2
.LBB2_747:
	s_delay_alu instid0(SALU_CYCLE_1) | instskip(SKIP_2) | instid1(VALU_DEP_1)
	s_or_b32 exec_lo, exec_lo, s1
	v_and_b32_e32 v0, 0x2000, v98
	s_mov_b32 s1, exec_lo
	v_cmpx_ne_u32_e32 0, v0
	s_cbranch_execz .LBB2_750
; %bb.748:
	s_cbranch_execnz .LBB2_758
; %bb.749:
	ds_load_b64 v[2:3], v0
	s_waitcnt lgkmcnt(0)
	flat_store_b64 v[12:13], v[2:3] offset:16
.LBB2_750:
	s_or_b32 exec_lo, exec_lo, s1
	v_cmp_ne_u32_e32 vcc_lo, 32, v1
	s_and_b32 exec_lo, exec_lo, vcc_lo
	s_cbranch_execz .LBB2_853
; %bb.751:
	s_mov_b32 s1, exec_lo
	v_cmpx_ne_u32_e64 v30, v1
	s_xor_b32 s1, exec_lo, s1
	s_cbranch_execz .LBB2_851
; %bb.752:
	v_and_b32_e32 v0, 31, v31
	s_mov_b32 s2, exec_lo
	s_delay_alu instid0(VALU_DEP_1)
	v_cmpx_eq_u32_e32 0, v0
	s_cbranch_execz .LBB2_850
; %bb.753:
	s_mov_b32 s4, exec_lo
	s_mov_b32 s3, exec_lo
	v_mbcnt_lo_u32_b32 v0, s4, 0
	s_waitcnt lgkmcnt(0)
	s_waitcnt_vscnt null, 0x0
	buffer_gl1_inv
	buffer_gl0_inv
	v_cmpx_eq_u32_e32 0, v0
	s_cbranch_execz .LBB2_755
; %bb.754:
	s_bcnt1_i32_b32 s4, s4
	s_delay_alu instid0(SALU_CYCLE_1)
	v_dual_mov_b32 v3, 0 :: v_dual_mov_b32 v2, s4
	ds_add_u64 v0, v[2:3]
	s_cbranch_execnz .LBB2_777
.LBB2_755:
	s_or_b32 exec_lo, exec_lo, s3
	s_cbranch_execnz .LBB2_768
; %bb.756:
	v_ashrrev_i32_e32 v0, 31, v1
	s_mov_b32 s3, exec_lo
	s_delay_alu instid0(VALU_DEP_1) | instskip(NEXT) | instid1(VALU_DEP_1)
	v_lshrrev_b32_e32 v0, 27, v0
	v_add_nc_u32_e32 v0, v1, v0
	ds_load_b64 v[2:3], v0
	v_ashrrev_i32_e32 v0, 5, v0
	s_delay_alu instid0(VALU_DEP_1) | instskip(SKIP_1) | instid1(VALU_DEP_2)
	v_ashrrev_i32_e32 v1, 31, v0
	v_add_co_u32 v0, vcc_lo, v10, v0
	v_add_co_ci_u32_e32 v1, vcc_lo, v11, v1, vcc_lo
	s_waitcnt lgkmcnt(0)
	s_delay_alu instid0(VALU_DEP_1)
	v_cmpx_lt_u64_e64 v[2:3], v[0:1]
	s_cbranch_execz .LBB2_849
; %bb.757:
	s_mov_b32 s4, 0
	s_mov_b32 s7, 0
                                        ; implicit-def: $sgpr5
                                        ; implicit-def: $sgpr6
	s_branch .LBB2_771
.LBB2_758:
	s_trap 2
	s_sendmsg_rtn_b32 s0, sendmsg(MSG_RTN_GET_DOORBELL)
	s_mov_b32 ttmp2, m0
	s_waitcnt lgkmcnt(0)
	s_and_b32 s0, s0, 0x3ff
	s_delay_alu instid0(SALU_CYCLE_1) | instskip(NEXT) | instid1(SALU_CYCLE_1)
	s_bitset1_b32 s0, 10
	s_mov_b32 m0, s0
	s_sendmsg sendmsg(MSG_INTERRUPT)
	s_mov_b32 m0, ttmp2
.LBB2_759:                              ; =>This Inner Loop Header: Depth=1
	s_sethalt 5
	s_branch .LBB2_759
.LBB2_760:
	s_trap 2
	s_sendmsg_rtn_b32 s0, sendmsg(MSG_RTN_GET_DOORBELL)
	s_mov_b32 ttmp2, m0
	s_waitcnt lgkmcnt(0)
	s_and_b32 s0, s0, 0x3ff
	s_delay_alu instid0(SALU_CYCLE_1) | instskip(NEXT) | instid1(SALU_CYCLE_1)
	s_bitset1_b32 s0, 10
	s_mov_b32 m0, s0
	s_sendmsg sendmsg(MSG_INTERRUPT)
	s_mov_b32 m0, ttmp2
.LBB2_761:                              ; =>This Inner Loop Header: Depth=1
	s_sethalt 5
	s_branch .LBB2_761
.LBB2_762:
	s_trap 2
	s_sendmsg_rtn_b32 s0, sendmsg(MSG_RTN_GET_DOORBELL)
	s_mov_b32 ttmp2, m0
	s_waitcnt lgkmcnt(0)
	s_and_b32 s0, s0, 0x3ff
	s_delay_alu instid0(SALU_CYCLE_1) | instskip(NEXT) | instid1(SALU_CYCLE_1)
	s_bitset1_b32 s0, 10
	s_mov_b32 m0, s0
	s_sendmsg sendmsg(MSG_INTERRUPT)
	s_mov_b32 m0, ttmp2
.LBB2_763:                              ; =>This Inner Loop Header: Depth=1
	s_sethalt 5
	s_branch .LBB2_763
.LBB2_764:
	s_trap 2
	s_sendmsg_rtn_b32 s0, sendmsg(MSG_RTN_GET_DOORBELL)
	s_mov_b32 ttmp2, m0
	s_waitcnt lgkmcnt(0)
	s_and_b32 s0, s0, 0x3ff
	s_delay_alu instid0(SALU_CYCLE_1) | instskip(NEXT) | instid1(SALU_CYCLE_1)
	s_bitset1_b32 s0, 10
	s_mov_b32 m0, s0
	s_sendmsg sendmsg(MSG_INTERRUPT)
	s_mov_b32 m0, ttmp2
.LBB2_765:                              ; =>This Inner Loop Header: Depth=1
	s_sethalt 5
	s_branch .LBB2_765
.LBB2_766:
	s_trap 2
	s_sendmsg_rtn_b32 s0, sendmsg(MSG_RTN_GET_DOORBELL)
	s_mov_b32 ttmp2, m0
	s_waitcnt lgkmcnt(0)
	s_and_b32 s0, s0, 0x3ff
	s_delay_alu instid0(SALU_CYCLE_1) | instskip(NEXT) | instid1(SALU_CYCLE_1)
	s_bitset1_b32 s0, 10
	s_mov_b32 m0, s0
	s_sendmsg sendmsg(MSG_INTERRUPT)
	s_mov_b32 m0, ttmp2
.LBB2_767:                              ; =>This Inner Loop Header: Depth=1
	s_sethalt 5
	s_branch .LBB2_767
.LBB2_768:
	s_trap 2
	s_sendmsg_rtn_b32 s0, sendmsg(MSG_RTN_GET_DOORBELL)
	s_mov_b32 ttmp2, m0
	s_waitcnt lgkmcnt(0)
	s_and_b32 s0, s0, 0x3ff
	s_delay_alu instid0(SALU_CYCLE_1) | instskip(NEXT) | instid1(SALU_CYCLE_1)
	s_bitset1_b32 s0, 10
	s_mov_b32 m0, s0
	s_sendmsg sendmsg(MSG_INTERRUPT)
	s_mov_b32 m0, ttmp2
.LBB2_769:                              ; =>This Inner Loop Header: Depth=1
	s_sethalt 5
	s_branch .LBB2_769
.LBB2_770:                              ;   in Loop: Header=BB2_771 Depth=1
	s_or_b32 exec_lo, exec_lo, s12
	s_delay_alu instid0(SALU_CYCLE_1) | instskip(NEXT) | instid1(SALU_CYCLE_1)
	s_and_b32 s10, exec_lo, s11
	s_or_b32 s4, s10, s4
	s_and_not1_b32 s5, s5, exec_lo
	s_and_b32 s10, s6, exec_lo
	s_delay_alu instid0(SALU_CYCLE_1)
	s_or_b32 s5, s5, s10
	s_and_not1_b32 exec_lo, exec_lo, s4
	s_cbranch_execz .LBB2_847
.LBB2_771:                              ; =>This Inner Loop Header: Depth=1
	s_add_i32 s7, s7, 1
                                        ; implicit-def: $sgpr11
	s_delay_alu instid0(SALU_CYCLE_1) | instskip(SKIP_1) | instid1(SALU_CYCLE_1)
	s_cmpk_lg_i32 s7, 0x2710
	s_cselect_b32 s10, -1, 0
	s_and_b32 vcc_lo, exec_lo, s10
	s_cbranch_vccz .LBB2_775
.LBB2_772:                              ;   in Loop: Header=BB2_771 Depth=1
	s_and_not1_b32 s6, s6, exec_lo
	s_and_b32 s12, s11, exec_lo
	s_mov_b32 s11, -1
	s_or_b32 s6, s6, s12
	s_and_saveexec_b32 s12, s10
	s_cbranch_execz .LBB2_770
; %bb.773:                              ;   in Loop: Header=BB2_771 Depth=1
	s_sleep 1
	s_cbranch_execnz .LBB2_785
; %bb.774:                              ;   in Loop: Header=BB2_771 Depth=1
	ds_load_b64 v[2:3], v0
	s_and_not1_b32 s6, s6, exec_lo
	s_waitcnt lgkmcnt(0)
	v_cmp_ge_u64_e32 vcc_lo, v[2:3], v[0:1]
	s_or_not1_b32 s11, vcc_lo, exec_lo
	s_branch .LBB2_770
.LBB2_775:                              ;   in Loop: Header=BB2_771 Depth=1
	s_cbranch_execnz .LBB2_787
; %bb.776:                              ;   in Loop: Header=BB2_771 Depth=1
	ds_load_b64 v[2:3], v0
	s_and_not1_b32 s10, s10, exec_lo
	s_mov_b32 s7, 0
	s_mov_b32 s11, -1
	s_waitcnt lgkmcnt(0)
	flat_load_b32 v2, v[2:3] glc
	s_waitcnt vmcnt(0) lgkmcnt(0)
	buffer_gl1_inv
	buffer_gl0_inv
	v_cmp_eq_u32_e32 vcc_lo, 0, v2
	s_and_b32 s12, vcc_lo, exec_lo
	s_delay_alu instid0(SALU_CYCLE_1)
	s_or_b32 s10, s10, s12
	s_branch .LBB2_772
.LBB2_777:
	s_trap 2
	s_sendmsg_rtn_b32 s0, sendmsg(MSG_RTN_GET_DOORBELL)
	s_mov_b32 ttmp2, m0
	s_waitcnt lgkmcnt(0)
	s_and_b32 s0, s0, 0x3ff
	s_delay_alu instid0(SALU_CYCLE_1) | instskip(NEXT) | instid1(SALU_CYCLE_1)
	s_bitset1_b32 s0, 10
	s_mov_b32 m0, s0
	s_sendmsg sendmsg(MSG_INTERRUPT)
	s_mov_b32 m0, ttmp2
.LBB2_778:                              ; =>This Inner Loop Header: Depth=1
	s_sethalt 5
	s_branch .LBB2_778
.LBB2_779:
	s_trap 2
	s_sendmsg_rtn_b32 s0, sendmsg(MSG_RTN_GET_DOORBELL)
	s_mov_b32 ttmp2, m0
	s_waitcnt lgkmcnt(0)
	s_and_b32 s0, s0, 0x3ff
	s_delay_alu instid0(SALU_CYCLE_1) | instskip(NEXT) | instid1(SALU_CYCLE_1)
	s_bitset1_b32 s0, 10
	s_mov_b32 m0, s0
	s_sendmsg sendmsg(MSG_INTERRUPT)
	s_mov_b32 m0, ttmp2
.LBB2_780:                              ; =>This Inner Loop Header: Depth=1
	s_sethalt 5
	s_branch .LBB2_780
.LBB2_781:
	s_trap 2
	s_sendmsg_rtn_b32 s0, sendmsg(MSG_RTN_GET_DOORBELL)
	s_mov_b32 ttmp2, m0
	s_waitcnt lgkmcnt(0)
	s_and_b32 s0, s0, 0x3ff
	s_delay_alu instid0(SALU_CYCLE_1) | instskip(NEXT) | instid1(SALU_CYCLE_1)
	s_bitset1_b32 s0, 10
	s_mov_b32 m0, s0
	s_sendmsg sendmsg(MSG_INTERRUPT)
	s_mov_b32 m0, ttmp2
.LBB2_782:                              ; =>This Inner Loop Header: Depth=1
	s_sethalt 5
	s_branch .LBB2_782
.LBB2_783:
	s_trap 2
	s_sendmsg_rtn_b32 s0, sendmsg(MSG_RTN_GET_DOORBELL)
	s_mov_b32 ttmp2, m0
	s_waitcnt lgkmcnt(0)
	s_and_b32 s0, s0, 0x3ff
	s_delay_alu instid0(SALU_CYCLE_1) | instskip(NEXT) | instid1(SALU_CYCLE_1)
	s_bitset1_b32 s0, 10
	s_mov_b32 m0, s0
	s_sendmsg sendmsg(MSG_INTERRUPT)
	s_mov_b32 m0, ttmp2
.LBB2_784:                              ; =>This Inner Loop Header: Depth=1
	s_sethalt 5
	s_branch .LBB2_784
.LBB2_785:
	s_trap 2
	s_sendmsg_rtn_b32 s0, sendmsg(MSG_RTN_GET_DOORBELL)
	s_mov_b32 ttmp2, m0
	s_waitcnt lgkmcnt(0)
	s_and_b32 s0, s0, 0x3ff
	s_delay_alu instid0(SALU_CYCLE_1) | instskip(NEXT) | instid1(SALU_CYCLE_1)
	s_bitset1_b32 s0, 10
	s_mov_b32 m0, s0
	s_sendmsg sendmsg(MSG_INTERRUPT)
	s_mov_b32 m0, ttmp2
.LBB2_786:                              ; =>This Inner Loop Header: Depth=1
	s_sethalt 5
	s_branch .LBB2_786
.LBB2_787:
	s_trap 2
	s_sendmsg_rtn_b32 s0, sendmsg(MSG_RTN_GET_DOORBELL)
	s_mov_b32 ttmp2, m0
	s_waitcnt lgkmcnt(0)
	s_and_b32 s0, s0, 0x3ff
	s_delay_alu instid0(SALU_CYCLE_1) | instskip(NEXT) | instid1(SALU_CYCLE_1)
	s_bitset1_b32 s0, 10
	s_mov_b32 m0, s0
	s_sendmsg sendmsg(MSG_INTERRUPT)
	s_mov_b32 m0, ttmp2
.LBB2_788:                              ; =>This Inner Loop Header: Depth=1
	s_sethalt 5
	s_branch .LBB2_788
.LBB2_789:
	s_trap 2
	s_sendmsg_rtn_b32 s0, sendmsg(MSG_RTN_GET_DOORBELL)
	s_mov_b32 ttmp2, m0
	s_waitcnt lgkmcnt(0)
	s_and_b32 s0, s0, 0x3ff
	s_delay_alu instid0(SALU_CYCLE_1) | instskip(NEXT) | instid1(SALU_CYCLE_1)
	s_bitset1_b32 s0, 10
	s_mov_b32 m0, s0
	s_sendmsg sendmsg(MSG_INTERRUPT)
	s_mov_b32 m0, ttmp2
.LBB2_790:                              ; =>This Inner Loop Header: Depth=1
	s_sethalt 5
	s_branch .LBB2_790
.LBB2_791:
	s_trap 2
	s_sendmsg_rtn_b32 s0, sendmsg(MSG_RTN_GET_DOORBELL)
	s_mov_b32 ttmp2, m0
	s_waitcnt lgkmcnt(0)
	s_and_b32 s0, s0, 0x3ff
	s_delay_alu instid0(SALU_CYCLE_1) | instskip(NEXT) | instid1(SALU_CYCLE_1)
	s_bitset1_b32 s0, 10
	s_mov_b32 m0, s0
	s_sendmsg sendmsg(MSG_INTERRUPT)
	s_mov_b32 m0, ttmp2
.LBB2_792:                              ; =>This Inner Loop Header: Depth=1
	s_sethalt 5
	s_branch .LBB2_792
.LBB2_793:
	s_trap 2
	s_sendmsg_rtn_b32 s0, sendmsg(MSG_RTN_GET_DOORBELL)
	s_mov_b32 ttmp2, m0
	s_waitcnt lgkmcnt(0)
	s_and_b32 s0, s0, 0x3ff
	s_delay_alu instid0(SALU_CYCLE_1) | instskip(NEXT) | instid1(SALU_CYCLE_1)
	s_bitset1_b32 s0, 10
	s_mov_b32 m0, s0
	s_sendmsg sendmsg(MSG_INTERRUPT)
	s_mov_b32 m0, ttmp2
.LBB2_794:                              ; =>This Inner Loop Header: Depth=1
	s_sethalt 5
	s_branch .LBB2_794
.LBB2_795:
	s_trap 2
	s_sendmsg_rtn_b32 s0, sendmsg(MSG_RTN_GET_DOORBELL)
	s_mov_b32 ttmp2, m0
	s_waitcnt lgkmcnt(0)
	s_and_b32 s0, s0, 0x3ff
	s_delay_alu instid0(SALU_CYCLE_1) | instskip(NEXT) | instid1(SALU_CYCLE_1)
	s_bitset1_b32 s0, 10
	s_mov_b32 m0, s0
	s_sendmsg sendmsg(MSG_INTERRUPT)
	s_mov_b32 m0, ttmp2
.LBB2_796:                              ; =>This Inner Loop Header: Depth=1
	s_sethalt 5
	s_branch .LBB2_796
.LBB2_797:
	s_trap 2
	s_sendmsg_rtn_b32 s0, sendmsg(MSG_RTN_GET_DOORBELL)
	s_mov_b32 ttmp2, m0
	s_waitcnt lgkmcnt(0)
	s_and_b32 s0, s0, 0x3ff
	s_delay_alu instid0(SALU_CYCLE_1) | instskip(NEXT) | instid1(SALU_CYCLE_1)
	s_bitset1_b32 s0, 10
	s_mov_b32 m0, s0
	s_sendmsg sendmsg(MSG_INTERRUPT)
	s_mov_b32 m0, ttmp2
.LBB2_798:                              ; =>This Inner Loop Header: Depth=1
	s_sethalt 5
	s_branch .LBB2_798
.LBB2_799:
	s_trap 2
	s_sendmsg_rtn_b32 s0, sendmsg(MSG_RTN_GET_DOORBELL)
	s_mov_b32 ttmp2, m0
	s_waitcnt lgkmcnt(0)
	s_and_b32 s0, s0, 0x3ff
	s_delay_alu instid0(SALU_CYCLE_1) | instskip(NEXT) | instid1(SALU_CYCLE_1)
	s_bitset1_b32 s0, 10
	s_mov_b32 m0, s0
	s_sendmsg sendmsg(MSG_INTERRUPT)
	s_mov_b32 m0, ttmp2
.LBB2_800:                              ; =>This Inner Loop Header: Depth=1
	s_sethalt 5
	s_branch .LBB2_800
.LBB2_801:
	s_trap 2
	s_sendmsg_rtn_b32 s0, sendmsg(MSG_RTN_GET_DOORBELL)
	s_mov_b32 ttmp2, m0
	s_waitcnt lgkmcnt(0)
	s_and_b32 s0, s0, 0x3ff
	s_delay_alu instid0(SALU_CYCLE_1) | instskip(NEXT) | instid1(SALU_CYCLE_1)
	s_bitset1_b32 s0, 10
	s_mov_b32 m0, s0
	s_sendmsg sendmsg(MSG_INTERRUPT)
	s_mov_b32 m0, ttmp2
.LBB2_802:                              ; =>This Inner Loop Header: Depth=1
	s_sethalt 5
	s_branch .LBB2_802
.LBB2_803:
	s_trap 2
	s_sendmsg_rtn_b32 s0, sendmsg(MSG_RTN_GET_DOORBELL)
	s_mov_b32 ttmp2, m0
	s_waitcnt lgkmcnt(0)
	s_and_b32 s0, s0, 0x3ff
	s_delay_alu instid0(SALU_CYCLE_1) | instskip(NEXT) | instid1(SALU_CYCLE_1)
	s_bitset1_b32 s0, 10
	s_mov_b32 m0, s0
	s_sendmsg sendmsg(MSG_INTERRUPT)
	s_mov_b32 m0, ttmp2
.LBB2_804:                              ; =>This Inner Loop Header: Depth=1
	s_sethalt 5
	s_branch .LBB2_804
.LBB2_805:
	s_trap 2
	s_sendmsg_rtn_b32 s0, sendmsg(MSG_RTN_GET_DOORBELL)
	s_mov_b32 ttmp2, m0
	s_waitcnt lgkmcnt(0)
	s_and_b32 s0, s0, 0x3ff
	s_delay_alu instid0(SALU_CYCLE_1) | instskip(NEXT) | instid1(SALU_CYCLE_1)
	s_bitset1_b32 s0, 10
	s_mov_b32 m0, s0
	s_sendmsg sendmsg(MSG_INTERRUPT)
	s_mov_b32 m0, ttmp2
.LBB2_806:                              ; =>This Inner Loop Header: Depth=1
	s_sethalt 5
	s_branch .LBB2_806
.LBB2_807:
	s_trap 2
	s_sendmsg_rtn_b32 s0, sendmsg(MSG_RTN_GET_DOORBELL)
	s_mov_b32 ttmp2, m0
	s_waitcnt lgkmcnt(0)
	s_and_b32 s0, s0, 0x3ff
	s_delay_alu instid0(SALU_CYCLE_1) | instskip(NEXT) | instid1(SALU_CYCLE_1)
	s_bitset1_b32 s0, 10
	s_mov_b32 m0, s0
	s_sendmsg sendmsg(MSG_INTERRUPT)
	s_mov_b32 m0, ttmp2
.LBB2_808:                              ; =>This Inner Loop Header: Depth=1
	s_sethalt 5
	s_branch .LBB2_808
.LBB2_809:
	s_trap 2
	s_sendmsg_rtn_b32 s0, sendmsg(MSG_RTN_GET_DOORBELL)
	s_mov_b32 ttmp2, m0
	s_waitcnt lgkmcnt(0)
	s_and_b32 s0, s0, 0x3ff
	s_delay_alu instid0(SALU_CYCLE_1) | instskip(NEXT) | instid1(SALU_CYCLE_1)
	s_bitset1_b32 s0, 10
	s_mov_b32 m0, s0
	s_sendmsg sendmsg(MSG_INTERRUPT)
	s_mov_b32 m0, ttmp2
.LBB2_810:                              ; =>This Inner Loop Header: Depth=1
	s_sethalt 5
	s_branch .LBB2_810
.LBB2_811:
	s_trap 2
	s_sendmsg_rtn_b32 s0, sendmsg(MSG_RTN_GET_DOORBELL)
	s_mov_b32 ttmp2, m0
	s_waitcnt lgkmcnt(0)
	s_and_b32 s0, s0, 0x3ff
	s_delay_alu instid0(SALU_CYCLE_1) | instskip(NEXT) | instid1(SALU_CYCLE_1)
	s_bitset1_b32 s0, 10
	s_mov_b32 m0, s0
	s_sendmsg sendmsg(MSG_INTERRUPT)
	s_mov_b32 m0, ttmp2
.LBB2_812:                              ; =>This Inner Loop Header: Depth=1
	s_sethalt 5
	s_branch .LBB2_812
.LBB2_813:
	s_trap 2
	s_sendmsg_rtn_b32 s0, sendmsg(MSG_RTN_GET_DOORBELL)
	s_mov_b32 ttmp2, m0
	s_waitcnt lgkmcnt(0)
	s_and_b32 s0, s0, 0x3ff
	s_delay_alu instid0(SALU_CYCLE_1) | instskip(NEXT) | instid1(SALU_CYCLE_1)
	s_bitset1_b32 s0, 10
	s_mov_b32 m0, s0
	s_sendmsg sendmsg(MSG_INTERRUPT)
	s_mov_b32 m0, ttmp2
.LBB2_814:                              ; =>This Inner Loop Header: Depth=1
	s_sethalt 5
	s_branch .LBB2_814
.LBB2_815:
	s_trap 2
	s_sendmsg_rtn_b32 s0, sendmsg(MSG_RTN_GET_DOORBELL)
	s_mov_b32 ttmp2, m0
	s_waitcnt lgkmcnt(0)
	s_and_b32 s0, s0, 0x3ff
	s_delay_alu instid0(SALU_CYCLE_1) | instskip(NEXT) | instid1(SALU_CYCLE_1)
	s_bitset1_b32 s0, 10
	s_mov_b32 m0, s0
	s_sendmsg sendmsg(MSG_INTERRUPT)
	s_mov_b32 m0, ttmp2
.LBB2_816:                              ; =>This Inner Loop Header: Depth=1
	s_sethalt 5
	s_branch .LBB2_816
.LBB2_817:
	s_trap 2
	s_sendmsg_rtn_b32 s0, sendmsg(MSG_RTN_GET_DOORBELL)
	s_mov_b32 ttmp2, m0
	s_waitcnt lgkmcnt(0)
	s_and_b32 s0, s0, 0x3ff
	s_delay_alu instid0(SALU_CYCLE_1) | instskip(NEXT) | instid1(SALU_CYCLE_1)
	s_bitset1_b32 s0, 10
	s_mov_b32 m0, s0
	s_sendmsg sendmsg(MSG_INTERRUPT)
	s_mov_b32 m0, ttmp2
.LBB2_818:                              ; =>This Inner Loop Header: Depth=1
	s_sethalt 5
	s_branch .LBB2_818
.LBB2_819:
	s_trap 2
	s_sendmsg_rtn_b32 s0, sendmsg(MSG_RTN_GET_DOORBELL)
	s_mov_b32 ttmp2, m0
	s_waitcnt lgkmcnt(0)
	s_and_b32 s0, s0, 0x3ff
	s_delay_alu instid0(SALU_CYCLE_1) | instskip(NEXT) | instid1(SALU_CYCLE_1)
	s_bitset1_b32 s0, 10
	s_mov_b32 m0, s0
	s_sendmsg sendmsg(MSG_INTERRUPT)
	s_mov_b32 m0, ttmp2
.LBB2_820:                              ; =>This Inner Loop Header: Depth=1
	s_sethalt 5
	s_branch .LBB2_820
.LBB2_821:
	s_trap 2
	s_sendmsg_rtn_b32 s0, sendmsg(MSG_RTN_GET_DOORBELL)
	s_mov_b32 ttmp2, m0
	s_waitcnt lgkmcnt(0)
	s_and_b32 s0, s0, 0x3ff
	s_delay_alu instid0(SALU_CYCLE_1) | instskip(NEXT) | instid1(SALU_CYCLE_1)
	s_bitset1_b32 s0, 10
	s_mov_b32 m0, s0
	s_sendmsg sendmsg(MSG_INTERRUPT)
	s_mov_b32 m0, ttmp2
.LBB2_822:                              ; =>This Inner Loop Header: Depth=1
	s_sethalt 5
	s_branch .LBB2_822
.LBB2_823:
	s_trap 2
	s_sendmsg_rtn_b32 s0, sendmsg(MSG_RTN_GET_DOORBELL)
	s_mov_b32 ttmp2, m0
	s_waitcnt lgkmcnt(0)
	s_and_b32 s0, s0, 0x3ff
	s_delay_alu instid0(SALU_CYCLE_1) | instskip(NEXT) | instid1(SALU_CYCLE_1)
	s_bitset1_b32 s0, 10
	s_mov_b32 m0, s0
	s_sendmsg sendmsg(MSG_INTERRUPT)
	s_mov_b32 m0, ttmp2
.LBB2_824:                              ; =>This Inner Loop Header: Depth=1
	s_sethalt 5
	s_branch .LBB2_824
.LBB2_825:
	s_trap 2
	s_sendmsg_rtn_b32 s0, sendmsg(MSG_RTN_GET_DOORBELL)
	s_mov_b32 ttmp2, m0
	s_waitcnt lgkmcnt(0)
	s_and_b32 s0, s0, 0x3ff
	s_delay_alu instid0(SALU_CYCLE_1) | instskip(NEXT) | instid1(SALU_CYCLE_1)
	s_bitset1_b32 s0, 10
	s_mov_b32 m0, s0
	s_sendmsg sendmsg(MSG_INTERRUPT)
	s_mov_b32 m0, ttmp2
.LBB2_826:                              ; =>This Inner Loop Header: Depth=1
	s_sethalt 5
	s_branch .LBB2_826
.LBB2_827:
	s_trap 2
	s_sendmsg_rtn_b32 s0, sendmsg(MSG_RTN_GET_DOORBELL)
	s_mov_b32 ttmp2, m0
	s_waitcnt lgkmcnt(0)
	s_and_b32 s0, s0, 0x3ff
	s_delay_alu instid0(SALU_CYCLE_1) | instskip(NEXT) | instid1(SALU_CYCLE_1)
	s_bitset1_b32 s0, 10
	s_mov_b32 m0, s0
	s_sendmsg sendmsg(MSG_INTERRUPT)
	s_mov_b32 m0, ttmp2
.LBB2_828:                              ; =>This Inner Loop Header: Depth=1
	s_sethalt 5
	s_branch .LBB2_828
.LBB2_829:
	s_trap 2
	s_sendmsg_rtn_b32 s0, sendmsg(MSG_RTN_GET_DOORBELL)
	s_mov_b32 ttmp2, m0
	s_waitcnt lgkmcnt(0)
	s_and_b32 s0, s0, 0x3ff
	s_delay_alu instid0(SALU_CYCLE_1) | instskip(NEXT) | instid1(SALU_CYCLE_1)
	s_bitset1_b32 s0, 10
	s_mov_b32 m0, s0
	s_sendmsg sendmsg(MSG_INTERRUPT)
	s_mov_b32 m0, ttmp2
.LBB2_830:                              ; =>This Inner Loop Header: Depth=1
	s_sethalt 5
	s_branch .LBB2_830
.LBB2_831:
	s_trap 2
	s_sendmsg_rtn_b32 s0, sendmsg(MSG_RTN_GET_DOORBELL)
	s_mov_b32 ttmp2, m0
	s_waitcnt lgkmcnt(0)
	s_and_b32 s0, s0, 0x3ff
	s_delay_alu instid0(SALU_CYCLE_1) | instskip(NEXT) | instid1(SALU_CYCLE_1)
	s_bitset1_b32 s0, 10
	s_mov_b32 m0, s0
	s_sendmsg sendmsg(MSG_INTERRUPT)
	s_mov_b32 m0, ttmp2
.LBB2_832:                              ; =>This Inner Loop Header: Depth=1
	s_sethalt 5
	s_branch .LBB2_832
.LBB2_833:
	s_trap 2
	s_sendmsg_rtn_b32 s0, sendmsg(MSG_RTN_GET_DOORBELL)
	s_mov_b32 ttmp2, m0
	s_waitcnt lgkmcnt(0)
	s_and_b32 s0, s0, 0x3ff
	s_delay_alu instid0(SALU_CYCLE_1) | instskip(NEXT) | instid1(SALU_CYCLE_1)
	s_bitset1_b32 s0, 10
	s_mov_b32 m0, s0
	s_sendmsg sendmsg(MSG_INTERRUPT)
	s_mov_b32 m0, ttmp2
.LBB2_834:                              ; =>This Inner Loop Header: Depth=1
	s_sethalt 5
	s_branch .LBB2_834
.LBB2_835:
	s_trap 2
	s_sendmsg_rtn_b32 s0, sendmsg(MSG_RTN_GET_DOORBELL)
	s_mov_b32 ttmp2, m0
	s_waitcnt lgkmcnt(0)
	s_and_b32 s0, s0, 0x3ff
	s_delay_alu instid0(SALU_CYCLE_1) | instskip(NEXT) | instid1(SALU_CYCLE_1)
	s_bitset1_b32 s0, 10
	s_mov_b32 m0, s0
	s_sendmsg sendmsg(MSG_INTERRUPT)
	s_mov_b32 m0, ttmp2
.LBB2_836:                              ; =>This Inner Loop Header: Depth=1
	s_sethalt 5
	s_branch .LBB2_836
.LBB2_837:
	s_trap 2
	s_sendmsg_rtn_b32 s0, sendmsg(MSG_RTN_GET_DOORBELL)
	s_mov_b32 ttmp2, m0
	s_waitcnt lgkmcnt(0)
	s_and_b32 s0, s0, 0x3ff
	s_delay_alu instid0(SALU_CYCLE_1) | instskip(NEXT) | instid1(SALU_CYCLE_1)
	s_bitset1_b32 s0, 10
	s_mov_b32 m0, s0
	s_sendmsg sendmsg(MSG_INTERRUPT)
	s_mov_b32 m0, ttmp2
.LBB2_838:                              ; =>This Inner Loop Header: Depth=1
	s_sethalt 5
	s_branch .LBB2_838
.LBB2_839:
	s_trap 2
	s_sendmsg_rtn_b32 s0, sendmsg(MSG_RTN_GET_DOORBELL)
	s_mov_b32 ttmp2, m0
	s_waitcnt lgkmcnt(0)
	s_and_b32 s0, s0, 0x3ff
	s_delay_alu instid0(SALU_CYCLE_1) | instskip(NEXT) | instid1(SALU_CYCLE_1)
	s_bitset1_b32 s0, 10
	s_mov_b32 m0, s0
	s_sendmsg sendmsg(MSG_INTERRUPT)
	s_mov_b32 m0, ttmp2
.LBB2_840:                              ; =>This Inner Loop Header: Depth=1
	s_sethalt 5
	s_branch .LBB2_840
.LBB2_841:
	s_trap 2
	s_sendmsg_rtn_b32 s0, sendmsg(MSG_RTN_GET_DOORBELL)
	s_mov_b32 ttmp2, m0
	s_waitcnt lgkmcnt(0)
	s_and_b32 s0, s0, 0x3ff
	s_delay_alu instid0(SALU_CYCLE_1) | instskip(NEXT) | instid1(SALU_CYCLE_1)
	s_bitset1_b32 s0, 10
	s_mov_b32 m0, s0
	s_sendmsg sendmsg(MSG_INTERRUPT)
	s_mov_b32 m0, ttmp2
.LBB2_842:                              ; =>This Inner Loop Header: Depth=1
	s_sethalt 5
	s_branch .LBB2_842
.LBB2_843:
	s_trap 2
	s_sendmsg_rtn_b32 s0, sendmsg(MSG_RTN_GET_DOORBELL)
	s_mov_b32 ttmp2, m0
	s_waitcnt lgkmcnt(0)
	s_and_b32 s0, s0, 0x3ff
	s_delay_alu instid0(SALU_CYCLE_1) | instskip(NEXT) | instid1(SALU_CYCLE_1)
	s_bitset1_b32 s0, 10
	s_mov_b32 m0, s0
	s_sendmsg sendmsg(MSG_INTERRUPT)
	s_mov_b32 m0, ttmp2
.LBB2_844:                              ; =>This Inner Loop Header: Depth=1
	s_sethalt 5
	s_branch .LBB2_844
.LBB2_845:
	s_trap 2
	s_sendmsg_rtn_b32 s0, sendmsg(MSG_RTN_GET_DOORBELL)
	s_mov_b32 ttmp2, m0
	s_waitcnt lgkmcnt(0)
	s_and_b32 s0, s0, 0x3ff
	s_delay_alu instid0(SALU_CYCLE_1) | instskip(NEXT) | instid1(SALU_CYCLE_1)
	s_bitset1_b32 s0, 10
	s_mov_b32 m0, s0
	s_sendmsg sendmsg(MSG_INTERRUPT)
	s_mov_b32 m0, ttmp2
.LBB2_846:                              ; =>This Inner Loop Header: Depth=1
	s_sethalt 5
	s_branch .LBB2_846
.LBB2_847:
	s_or_b32 exec_lo, exec_lo, s4
	s_and_saveexec_b32 s4, s5
	s_delay_alu instid0(SALU_CYCLE_1)
	s_xor_b32 s4, exec_lo, s4
	s_cbranch_execz .LBB2_849
; %bb.848:
	v_mov_b32_e32 v0, 1
	ds_store_b32 v0, v0
	s_cbranch_execnz .LBB2_897
.LBB2_849:
	s_or_b32 exec_lo, exec_lo, s3
	;;#ASMSTART
	s_wakeup
	;;#ASMEND
.LBB2_850:
	s_or_b32 exec_lo, exec_lo, s2
.LBB2_851:
	s_and_not1_saveexec_b32 s1, s1
	s_cbranch_execz .LBB2_853
; %bb.852:
	s_waitcnt lgkmcnt(0)
	s_waitcnt_vscnt null, 0x0
	buffer_gl1_inv
	buffer_gl0_inv
	s_barrier
.LBB2_853:
	s_or_b32 exec_lo, exec_lo, s0
.LBB2_854:
	s_and_not1_saveexec_b32 s21, s16
	s_cbranch_execz .LBB2_856
; %bb.855:
	s_getpc_b64 s[0:1]
	s_add_u32 s0, s0, __PRETTY_FUNCTION__._ZN10PrimitivesIa7FuncSumIaE12FanSymmetricILi1EELi0E11ProtoSimpleILi2ELi2ELi0ELi1ELi0ELi0EELi0ELb0ELi0ELi0ELi0EEC2EiiPKiS8_PKvPvmhhhP15ncclDevWorkCollP14ncclDevWorkP2pii@rel32@lo+4
	s_addc_u32 s1, s1, __PRETTY_FUNCTION__._ZN10PrimitivesIa7FuncSumIaE12FanSymmetricILi1EELi0E11ProtoSimpleILi2ELi2ELi0ELi1ELi0ELi0EELi0ELb0ELi0ELi0ELi0EEC2EiiPKiS8_PKvPvmhhhP15ncclDevWorkCollP14ncclDevWorkP2pii@rel32@hi+12
	s_delay_alu instid0(SALU_CYCLE_1) | instskip(SKIP_3) | instid1(SALU_CYCLE_1)
	v_dual_mov_b32 v0, s0 :: v_dual_mov_b32 v1, s1
	s_getpc_b64 s[2:3]
	s_add_u32 s2, s2, __assert_fail@rel32@lo+4
	s_addc_u32 s3, s3, __assert_fail@rel32@hi+12
	s_swappc_b64 s[30:31], s[2:3]
	; divergent unreachable
.LBB2_856:
	s_or_b32 exec_lo, exec_lo, s21
	scratch_load_b32 v40, off, s33          ; 4-byte Folded Reload
	v_readlane_b32 s30, v41, 8
	v_readlane_b32 s31, v41, 9
	;; [unrolled: 1-line block ×11, first 2 shown]
	s_or_saveexec_b32 s1, -1
	scratch_load_b32 v41, off, s33 offset:4 ; 4-byte Folded Reload
	s_mov_b32 exec_lo, s1
	s_add_i32 s32, s32, -16
	s_mov_b32 s33, s0
	s_waitcnt vmcnt(0) lgkmcnt(0)
	s_setpc_b64 s[30:31]
.LBB2_857:
	s_trap 2
	s_sendmsg_rtn_b32 s0, sendmsg(MSG_RTN_GET_DOORBELL)
	s_mov_b32 ttmp2, m0
	s_waitcnt lgkmcnt(0)
	s_and_b32 s0, s0, 0x3ff
	s_delay_alu instid0(SALU_CYCLE_1) | instskip(NEXT) | instid1(SALU_CYCLE_1)
	s_bitset1_b32 s0, 10
	s_mov_b32 m0, s0
	s_sendmsg sendmsg(MSG_INTERRUPT)
	s_mov_b32 m0, ttmp2
.LBB2_858:                              ; =>This Inner Loop Header: Depth=1
	s_sethalt 5
	s_branch .LBB2_858
.LBB2_859:
	s_trap 2
	s_sendmsg_rtn_b32 s0, sendmsg(MSG_RTN_GET_DOORBELL)
	s_mov_b32 ttmp2, m0
	s_waitcnt lgkmcnt(0)
	s_and_b32 s0, s0, 0x3ff
	s_delay_alu instid0(SALU_CYCLE_1) | instskip(NEXT) | instid1(SALU_CYCLE_1)
	s_bitset1_b32 s0, 10
	s_mov_b32 m0, s0
	s_sendmsg sendmsg(MSG_INTERRUPT)
	s_mov_b32 m0, ttmp2
.LBB2_860:                              ; =>This Inner Loop Header: Depth=1
	s_sethalt 5
	s_branch .LBB2_860
.LBB2_861:
	s_trap 2
	s_sendmsg_rtn_b32 s0, sendmsg(MSG_RTN_GET_DOORBELL)
	s_mov_b32 ttmp2, m0
	s_waitcnt lgkmcnt(0)
	s_and_b32 s0, s0, 0x3ff
	s_delay_alu instid0(SALU_CYCLE_1) | instskip(NEXT) | instid1(SALU_CYCLE_1)
	s_bitset1_b32 s0, 10
	s_mov_b32 m0, s0
	s_sendmsg sendmsg(MSG_INTERRUPT)
	s_mov_b32 m0, ttmp2
.LBB2_862:                              ; =>This Inner Loop Header: Depth=1
	s_sethalt 5
	s_branch .LBB2_862
.LBB2_863:
	s_trap 2
	s_sendmsg_rtn_b32 s0, sendmsg(MSG_RTN_GET_DOORBELL)
	s_mov_b32 ttmp2, m0
	s_waitcnt lgkmcnt(0)
	s_and_b32 s0, s0, 0x3ff
	s_delay_alu instid0(SALU_CYCLE_1) | instskip(NEXT) | instid1(SALU_CYCLE_1)
	s_bitset1_b32 s0, 10
	s_mov_b32 m0, s0
	s_sendmsg sendmsg(MSG_INTERRUPT)
	s_mov_b32 m0, ttmp2
.LBB2_864:                              ; =>This Inner Loop Header: Depth=1
	s_sethalt 5
	s_branch .LBB2_864
.LBB2_865:
	s_trap 2
	s_sendmsg_rtn_b32 s0, sendmsg(MSG_RTN_GET_DOORBELL)
	s_mov_b32 ttmp2, m0
	s_waitcnt lgkmcnt(0)
	s_and_b32 s0, s0, 0x3ff
	s_delay_alu instid0(SALU_CYCLE_1) | instskip(NEXT) | instid1(SALU_CYCLE_1)
	s_bitset1_b32 s0, 10
	s_mov_b32 m0, s0
	s_sendmsg sendmsg(MSG_INTERRUPT)
	s_mov_b32 m0, ttmp2
.LBB2_866:                              ; =>This Inner Loop Header: Depth=1
	s_sethalt 5
	s_branch .LBB2_866
.LBB2_867:
	s_trap 2
	s_sendmsg_rtn_b32 s0, sendmsg(MSG_RTN_GET_DOORBELL)
	s_mov_b32 ttmp2, m0
	s_waitcnt lgkmcnt(0)
	s_and_b32 s0, s0, 0x3ff
	s_delay_alu instid0(SALU_CYCLE_1) | instskip(NEXT) | instid1(SALU_CYCLE_1)
	s_bitset1_b32 s0, 10
	s_mov_b32 m0, s0
	s_sendmsg sendmsg(MSG_INTERRUPT)
	s_mov_b32 m0, ttmp2
.LBB2_868:                              ; =>This Inner Loop Header: Depth=1
	s_sethalt 5
	s_branch .LBB2_868
.LBB2_869:
	s_trap 2
	s_sendmsg_rtn_b32 s0, sendmsg(MSG_RTN_GET_DOORBELL)
	s_mov_b32 ttmp2, m0
	s_waitcnt lgkmcnt(0)
	s_and_b32 s0, s0, 0x3ff
	s_delay_alu instid0(SALU_CYCLE_1) | instskip(NEXT) | instid1(SALU_CYCLE_1)
	s_bitset1_b32 s0, 10
	s_mov_b32 m0, s0
	s_sendmsg sendmsg(MSG_INTERRUPT)
	s_mov_b32 m0, ttmp2
.LBB2_870:                              ; =>This Inner Loop Header: Depth=1
	s_sethalt 5
	s_branch .LBB2_870
.LBB2_871:
	s_trap 2
	s_sendmsg_rtn_b32 s0, sendmsg(MSG_RTN_GET_DOORBELL)
	s_mov_b32 ttmp2, m0
	s_waitcnt lgkmcnt(0)
	s_and_b32 s0, s0, 0x3ff
	s_delay_alu instid0(SALU_CYCLE_1) | instskip(NEXT) | instid1(SALU_CYCLE_1)
	s_bitset1_b32 s0, 10
	s_mov_b32 m0, s0
	s_sendmsg sendmsg(MSG_INTERRUPT)
	s_mov_b32 m0, ttmp2
.LBB2_872:                              ; =>This Inner Loop Header: Depth=1
	s_sethalt 5
	s_branch .LBB2_872
.LBB2_873:
	s_trap 2
	s_sendmsg_rtn_b32 s0, sendmsg(MSG_RTN_GET_DOORBELL)
	s_mov_b32 ttmp2, m0
	s_waitcnt lgkmcnt(0)
	s_and_b32 s0, s0, 0x3ff
	s_delay_alu instid0(SALU_CYCLE_1) | instskip(NEXT) | instid1(SALU_CYCLE_1)
	s_bitset1_b32 s0, 10
	s_mov_b32 m0, s0
	s_sendmsg sendmsg(MSG_INTERRUPT)
	s_mov_b32 m0, ttmp2
.LBB2_874:                              ; =>This Inner Loop Header: Depth=1
	s_sethalt 5
	s_branch .LBB2_874
.LBB2_875:
	s_trap 2
	s_sendmsg_rtn_b32 s0, sendmsg(MSG_RTN_GET_DOORBELL)
	s_mov_b32 ttmp2, m0
	s_waitcnt lgkmcnt(0)
	s_and_b32 s0, s0, 0x3ff
	s_delay_alu instid0(SALU_CYCLE_1) | instskip(NEXT) | instid1(SALU_CYCLE_1)
	s_bitset1_b32 s0, 10
	s_mov_b32 m0, s0
	s_sendmsg sendmsg(MSG_INTERRUPT)
	s_mov_b32 m0, ttmp2
.LBB2_876:                              ; =>This Inner Loop Header: Depth=1
	s_sethalt 5
	s_branch .LBB2_876
.LBB2_877:
	s_trap 2
	s_sendmsg_rtn_b32 s0, sendmsg(MSG_RTN_GET_DOORBELL)
	s_mov_b32 ttmp2, m0
	s_waitcnt lgkmcnt(0)
	s_and_b32 s0, s0, 0x3ff
	s_delay_alu instid0(SALU_CYCLE_1) | instskip(NEXT) | instid1(SALU_CYCLE_1)
	s_bitset1_b32 s0, 10
	s_mov_b32 m0, s0
	s_sendmsg sendmsg(MSG_INTERRUPT)
	s_mov_b32 m0, ttmp2
.LBB2_878:                              ; =>This Inner Loop Header: Depth=1
	s_sethalt 5
	s_branch .LBB2_878
.LBB2_879:
	s_trap 2
	s_sendmsg_rtn_b32 s0, sendmsg(MSG_RTN_GET_DOORBELL)
	s_mov_b32 ttmp2, m0
	s_waitcnt lgkmcnt(0)
	s_and_b32 s0, s0, 0x3ff
	s_delay_alu instid0(SALU_CYCLE_1) | instskip(NEXT) | instid1(SALU_CYCLE_1)
	s_bitset1_b32 s0, 10
	s_mov_b32 m0, s0
	s_sendmsg sendmsg(MSG_INTERRUPT)
	s_mov_b32 m0, ttmp2
.LBB2_880:                              ; =>This Inner Loop Header: Depth=1
	s_sethalt 5
	s_branch .LBB2_880
.LBB2_881:
	s_trap 2
	s_sendmsg_rtn_b32 s0, sendmsg(MSG_RTN_GET_DOORBELL)
	s_mov_b32 ttmp2, m0
	s_waitcnt lgkmcnt(0)
	s_and_b32 s0, s0, 0x3ff
	s_delay_alu instid0(SALU_CYCLE_1) | instskip(NEXT) | instid1(SALU_CYCLE_1)
	s_bitset1_b32 s0, 10
	s_mov_b32 m0, s0
	s_sendmsg sendmsg(MSG_INTERRUPT)
	s_mov_b32 m0, ttmp2
.LBB2_882:                              ; =>This Inner Loop Header: Depth=1
	s_sethalt 5
	s_branch .LBB2_882
.LBB2_883:
	s_trap 2
	s_sendmsg_rtn_b32 s0, sendmsg(MSG_RTN_GET_DOORBELL)
	s_mov_b32 ttmp2, m0
	s_waitcnt lgkmcnt(0)
	s_and_b32 s0, s0, 0x3ff
	s_delay_alu instid0(SALU_CYCLE_1) | instskip(NEXT) | instid1(SALU_CYCLE_1)
	s_bitset1_b32 s0, 10
	s_mov_b32 m0, s0
	s_sendmsg sendmsg(MSG_INTERRUPT)
	s_mov_b32 m0, ttmp2
.LBB2_884:                              ; =>This Inner Loop Header: Depth=1
	s_sethalt 5
	s_branch .LBB2_884
.LBB2_885:
	s_trap 2
	s_sendmsg_rtn_b32 s0, sendmsg(MSG_RTN_GET_DOORBELL)
	s_mov_b32 ttmp2, m0
	s_waitcnt lgkmcnt(0)
	s_and_b32 s0, s0, 0x3ff
	s_delay_alu instid0(SALU_CYCLE_1) | instskip(NEXT) | instid1(SALU_CYCLE_1)
	s_bitset1_b32 s0, 10
	s_mov_b32 m0, s0
	s_sendmsg sendmsg(MSG_INTERRUPT)
	s_mov_b32 m0, ttmp2
.LBB2_886:                              ; =>This Inner Loop Header: Depth=1
	s_sethalt 5
	s_branch .LBB2_886
.LBB2_887:
	s_trap 2
	s_sendmsg_rtn_b32 s0, sendmsg(MSG_RTN_GET_DOORBELL)
	s_mov_b32 ttmp2, m0
	s_waitcnt lgkmcnt(0)
	s_and_b32 s0, s0, 0x3ff
	s_delay_alu instid0(SALU_CYCLE_1) | instskip(NEXT) | instid1(SALU_CYCLE_1)
	s_bitset1_b32 s0, 10
	s_mov_b32 m0, s0
	s_sendmsg sendmsg(MSG_INTERRUPT)
	s_mov_b32 m0, ttmp2
.LBB2_888:                              ; =>This Inner Loop Header: Depth=1
	s_sethalt 5
	s_branch .LBB2_888
.LBB2_889:
	s_trap 2
	s_sendmsg_rtn_b32 s0, sendmsg(MSG_RTN_GET_DOORBELL)
	s_mov_b32 ttmp2, m0
	s_waitcnt lgkmcnt(0)
	s_and_b32 s0, s0, 0x3ff
	s_delay_alu instid0(SALU_CYCLE_1) | instskip(NEXT) | instid1(SALU_CYCLE_1)
	s_bitset1_b32 s0, 10
	s_mov_b32 m0, s0
	s_sendmsg sendmsg(MSG_INTERRUPT)
	s_mov_b32 m0, ttmp2
.LBB2_890:                              ; =>This Inner Loop Header: Depth=1
	s_sethalt 5
	s_branch .LBB2_890
.LBB2_891:
	s_trap 2
	s_sendmsg_rtn_b32 s0, sendmsg(MSG_RTN_GET_DOORBELL)
	s_mov_b32 ttmp2, m0
	s_waitcnt lgkmcnt(0)
	s_and_b32 s0, s0, 0x3ff
	s_delay_alu instid0(SALU_CYCLE_1) | instskip(NEXT) | instid1(SALU_CYCLE_1)
	s_bitset1_b32 s0, 10
	s_mov_b32 m0, s0
	s_sendmsg sendmsg(MSG_INTERRUPT)
	s_mov_b32 m0, ttmp2
.LBB2_892:                              ; =>This Inner Loop Header: Depth=1
	s_sethalt 5
	s_branch .LBB2_892
.LBB2_893:
	s_trap 2
	s_sendmsg_rtn_b32 s0, sendmsg(MSG_RTN_GET_DOORBELL)
	s_mov_b32 ttmp2, m0
	s_waitcnt lgkmcnt(0)
	s_and_b32 s0, s0, 0x3ff
	s_delay_alu instid0(SALU_CYCLE_1) | instskip(NEXT) | instid1(SALU_CYCLE_1)
	s_bitset1_b32 s0, 10
	s_mov_b32 m0, s0
	s_sendmsg sendmsg(MSG_INTERRUPT)
	s_mov_b32 m0, ttmp2
.LBB2_894:                              ; =>This Inner Loop Header: Depth=1
	s_sethalt 5
	s_branch .LBB2_894
.LBB2_895:
	s_trap 2
	s_sendmsg_rtn_b32 s0, sendmsg(MSG_RTN_GET_DOORBELL)
	s_mov_b32 ttmp2, m0
	s_waitcnt lgkmcnt(0)
	s_and_b32 s0, s0, 0x3ff
	s_delay_alu instid0(SALU_CYCLE_1) | instskip(NEXT) | instid1(SALU_CYCLE_1)
	s_bitset1_b32 s0, 10
	s_mov_b32 m0, s0
	s_sendmsg sendmsg(MSG_INTERRUPT)
	s_mov_b32 m0, ttmp2
.LBB2_896:                              ; =>This Inner Loop Header: Depth=1
	s_sethalt 5
	s_branch .LBB2_896
.LBB2_897:
	s_trap 2
	s_sendmsg_rtn_b32 s0, sendmsg(MSG_RTN_GET_DOORBELL)
	s_mov_b32 ttmp2, m0
	s_waitcnt lgkmcnt(0)
	s_and_b32 s0, s0, 0x3ff
	s_delay_alu instid0(SALU_CYCLE_1) | instskip(NEXT) | instid1(SALU_CYCLE_1)
	s_bitset1_b32 s0, 10
	s_mov_b32 m0, s0
	s_sendmsg sendmsg(MSG_INTERRUPT)
	s_mov_b32 m0, ttmp2
.LBB2_898:                              ; =>This Inner Loop Header: Depth=1
	s_sethalt 5
	s_branch .LBB2_898
.LBB2_899:
	s_trap 2
	s_sendmsg_rtn_b32 s0, sendmsg(MSG_RTN_GET_DOORBELL)
	s_mov_b32 ttmp2, m0
	s_waitcnt lgkmcnt(0)
	s_and_b32 s0, s0, 0x3ff
	s_delay_alu instid0(SALU_CYCLE_1) | instskip(NEXT) | instid1(SALU_CYCLE_1)
	s_bitset1_b32 s0, 10
	s_mov_b32 m0, s0
	s_sendmsg sendmsg(MSG_INTERRUPT)
	s_mov_b32 m0, ttmp2
.LBB2_900:                              ; =>This Inner Loop Header: Depth=1
	s_sethalt 5
	s_branch .LBB2_900
.LBB2_901:
	s_trap 2
	s_sendmsg_rtn_b32 s0, sendmsg(MSG_RTN_GET_DOORBELL)
	s_mov_b32 ttmp2, m0
	s_waitcnt lgkmcnt(0)
	s_and_b32 s0, s0, 0x3ff
	s_delay_alu instid0(SALU_CYCLE_1) | instskip(NEXT) | instid1(SALU_CYCLE_1)
	s_bitset1_b32 s0, 10
	s_mov_b32 m0, s0
	s_sendmsg sendmsg(MSG_INTERRUPT)
	s_mov_b32 m0, ttmp2
.LBB2_902:                              ; =>This Inner Loop Header: Depth=1
	s_sethalt 5
	s_branch .LBB2_902
.LBB2_903:
	s_trap 2
	s_sendmsg_rtn_b32 s0, sendmsg(MSG_RTN_GET_DOORBELL)
	s_mov_b32 ttmp2, m0
	s_waitcnt lgkmcnt(0)
	s_and_b32 s0, s0, 0x3ff
	s_delay_alu instid0(SALU_CYCLE_1) | instskip(NEXT) | instid1(SALU_CYCLE_1)
	s_bitset1_b32 s0, 10
	s_mov_b32 m0, s0
	s_sendmsg sendmsg(MSG_INTERRUPT)
	s_mov_b32 m0, ttmp2
.LBB2_904:                              ; =>This Inner Loop Header: Depth=1
	s_sethalt 5
	s_branch .LBB2_904
.LBB2_905:
	s_trap 2
	s_sendmsg_rtn_b32 s0, sendmsg(MSG_RTN_GET_DOORBELL)
	s_mov_b32 ttmp2, m0
	s_waitcnt lgkmcnt(0)
	s_and_b32 s0, s0, 0x3ff
	s_delay_alu instid0(SALU_CYCLE_1) | instskip(NEXT) | instid1(SALU_CYCLE_1)
	s_bitset1_b32 s0, 10
	s_mov_b32 m0, s0
	s_sendmsg sendmsg(MSG_INTERRUPT)
	s_mov_b32 m0, ttmp2
.LBB2_906:                              ; =>This Inner Loop Header: Depth=1
	s_sethalt 5
	s_branch .LBB2_906
.LBB2_907:
	s_trap 2
	s_sendmsg_rtn_b32 s0, sendmsg(MSG_RTN_GET_DOORBELL)
	s_mov_b32 ttmp2, m0
	s_waitcnt lgkmcnt(0)
	s_and_b32 s0, s0, 0x3ff
	s_delay_alu instid0(SALU_CYCLE_1) | instskip(NEXT) | instid1(SALU_CYCLE_1)
	s_bitset1_b32 s0, 10
	s_mov_b32 m0, s0
	s_sendmsg sendmsg(MSG_INTERRUPT)
	s_mov_b32 m0, ttmp2
.LBB2_908:                              ; =>This Inner Loop Header: Depth=1
	s_sethalt 5
	s_branch .LBB2_908
.LBB2_909:
	s_trap 2
	s_sendmsg_rtn_b32 s0, sendmsg(MSG_RTN_GET_DOORBELL)
	s_mov_b32 ttmp2, m0
	s_waitcnt lgkmcnt(0)
	s_and_b32 s0, s0, 0x3ff
	s_delay_alu instid0(SALU_CYCLE_1) | instskip(NEXT) | instid1(SALU_CYCLE_1)
	s_bitset1_b32 s0, 10
	s_mov_b32 m0, s0
	s_sendmsg sendmsg(MSG_INTERRUPT)
	s_mov_b32 m0, ttmp2
.LBB2_910:                              ; =>This Inner Loop Header: Depth=1
	s_sethalt 5
	s_branch .LBB2_910
.LBB2_911:
	s_trap 2
	s_sendmsg_rtn_b32 s0, sendmsg(MSG_RTN_GET_DOORBELL)
	s_mov_b32 ttmp2, m0
	s_waitcnt lgkmcnt(0)
	s_and_b32 s0, s0, 0x3ff
	s_delay_alu instid0(SALU_CYCLE_1) | instskip(NEXT) | instid1(SALU_CYCLE_1)
	s_bitset1_b32 s0, 10
	s_mov_b32 m0, s0
	s_sendmsg sendmsg(MSG_INTERRUPT)
	s_mov_b32 m0, ttmp2
.LBB2_912:                              ; =>This Inner Loop Header: Depth=1
	s_sethalt 5
	s_branch .LBB2_912
.LBB2_913:
	s_trap 2
	s_sendmsg_rtn_b32 s0, sendmsg(MSG_RTN_GET_DOORBELL)
	s_mov_b32 ttmp2, m0
	s_waitcnt lgkmcnt(0)
	s_and_b32 s0, s0, 0x3ff
	s_delay_alu instid0(SALU_CYCLE_1) | instskip(NEXT) | instid1(SALU_CYCLE_1)
	s_bitset1_b32 s0, 10
	s_mov_b32 m0, s0
	s_sendmsg sendmsg(MSG_INTERRUPT)
	s_mov_b32 m0, ttmp2
.LBB2_914:                              ; =>This Inner Loop Header: Depth=1
	s_sethalt 5
	s_branch .LBB2_914
.LBB2_915:
	s_trap 2
	s_sendmsg_rtn_b32 s0, sendmsg(MSG_RTN_GET_DOORBELL)
	s_mov_b32 ttmp2, m0
	s_waitcnt lgkmcnt(0)
	s_and_b32 s0, s0, 0x3ff
	s_delay_alu instid0(SALU_CYCLE_1) | instskip(NEXT) | instid1(SALU_CYCLE_1)
	s_bitset1_b32 s0, 10
	s_mov_b32 m0, s0
	s_sendmsg sendmsg(MSG_INTERRUPT)
	s_mov_b32 m0, ttmp2
.LBB2_916:                              ; =>This Inner Loop Header: Depth=1
	s_sethalt 5
	s_branch .LBB2_916
.LBB2_917:
	s_trap 2
	s_sendmsg_rtn_b32 s0, sendmsg(MSG_RTN_GET_DOORBELL)
	s_mov_b32 ttmp2, m0
	s_waitcnt lgkmcnt(0)
	s_and_b32 s0, s0, 0x3ff
	s_delay_alu instid0(SALU_CYCLE_1) | instskip(NEXT) | instid1(SALU_CYCLE_1)
	s_bitset1_b32 s0, 10
	s_mov_b32 m0, s0
	s_sendmsg sendmsg(MSG_INTERRUPT)
	s_mov_b32 m0, ttmp2
.LBB2_918:                              ; =>This Inner Loop Header: Depth=1
	s_sethalt 5
	s_branch .LBB2_918
.LBB2_919:
	s_trap 2
	s_sendmsg_rtn_b32 s0, sendmsg(MSG_RTN_GET_DOORBELL)
	s_mov_b32 ttmp2, m0
	s_waitcnt lgkmcnt(0)
	s_and_b32 s0, s0, 0x3ff
	s_delay_alu instid0(SALU_CYCLE_1) | instskip(NEXT) | instid1(SALU_CYCLE_1)
	s_bitset1_b32 s0, 10
	s_mov_b32 m0, s0
	s_sendmsg sendmsg(MSG_INTERRUPT)
	s_mov_b32 m0, ttmp2
.LBB2_920:                              ; =>This Inner Loop Header: Depth=1
	s_sethalt 5
	s_branch .LBB2_920
.LBB2_921:
	s_trap 2
	s_sendmsg_rtn_b32 s0, sendmsg(MSG_RTN_GET_DOORBELL)
	s_mov_b32 ttmp2, m0
	s_waitcnt lgkmcnt(0)
	s_and_b32 s0, s0, 0x3ff
	s_delay_alu instid0(SALU_CYCLE_1) | instskip(NEXT) | instid1(SALU_CYCLE_1)
	s_bitset1_b32 s0, 10
	s_mov_b32 m0, s0
	s_sendmsg sendmsg(MSG_INTERRUPT)
	s_mov_b32 m0, ttmp2
.LBB2_922:                              ; =>This Inner Loop Header: Depth=1
	s_sethalt 5
	s_branch .LBB2_922
.LBB2_923:
	s_trap 2
	s_sendmsg_rtn_b32 s0, sendmsg(MSG_RTN_GET_DOORBELL)
	s_mov_b32 ttmp2, m0
	s_waitcnt lgkmcnt(0)
	s_and_b32 s0, s0, 0x3ff
	s_delay_alu instid0(SALU_CYCLE_1) | instskip(NEXT) | instid1(SALU_CYCLE_1)
	s_bitset1_b32 s0, 10
	s_mov_b32 m0, s0
	s_sendmsg sendmsg(MSG_INTERRUPT)
	s_mov_b32 m0, ttmp2
.LBB2_924:                              ; =>This Inner Loop Header: Depth=1
	s_sethalt 5
	s_branch .LBB2_924
.LBB2_925:
	s_trap 2
	s_sendmsg_rtn_b32 s0, sendmsg(MSG_RTN_GET_DOORBELL)
	s_mov_b32 ttmp2, m0
	s_waitcnt lgkmcnt(0)
	s_and_b32 s0, s0, 0x3ff
	s_delay_alu instid0(SALU_CYCLE_1) | instskip(NEXT) | instid1(SALU_CYCLE_1)
	s_bitset1_b32 s0, 10
	s_mov_b32 m0, s0
	s_sendmsg sendmsg(MSG_INTERRUPT)
	s_mov_b32 m0, ttmp2
.LBB2_926:                              ; =>This Inner Loop Header: Depth=1
	s_sethalt 5
	s_branch .LBB2_926
.LBB2_927:
	s_trap 2
	s_sendmsg_rtn_b32 s0, sendmsg(MSG_RTN_GET_DOORBELL)
	s_mov_b32 ttmp2, m0
	s_waitcnt lgkmcnt(0)
	s_and_b32 s0, s0, 0x3ff
	s_delay_alu instid0(SALU_CYCLE_1) | instskip(NEXT) | instid1(SALU_CYCLE_1)
	s_bitset1_b32 s0, 10
	s_mov_b32 m0, s0
	s_sendmsg sendmsg(MSG_INTERRUPT)
	s_mov_b32 m0, ttmp2
.LBB2_928:                              ; =>This Inner Loop Header: Depth=1
	s_sethalt 5
	s_branch .LBB2_928
.LBB2_929:
	s_trap 2
	s_sendmsg_rtn_b32 s0, sendmsg(MSG_RTN_GET_DOORBELL)
	s_mov_b32 ttmp2, m0
	s_waitcnt lgkmcnt(0)
	s_and_b32 s0, s0, 0x3ff
	s_delay_alu instid0(SALU_CYCLE_1) | instskip(NEXT) | instid1(SALU_CYCLE_1)
	s_bitset1_b32 s0, 10
	s_mov_b32 m0, s0
	s_sendmsg sendmsg(MSG_INTERRUPT)
	s_mov_b32 m0, ttmp2
.LBB2_930:                              ; =>This Inner Loop Header: Depth=1
	s_sethalt 5
	s_branch .LBB2_930
.LBB2_931:
	s_trap 2
	s_sendmsg_rtn_b32 s0, sendmsg(MSG_RTN_GET_DOORBELL)
	s_mov_b32 ttmp2, m0
	s_waitcnt lgkmcnt(0)
	s_and_b32 s0, s0, 0x3ff
	s_delay_alu instid0(SALU_CYCLE_1) | instskip(NEXT) | instid1(SALU_CYCLE_1)
	s_bitset1_b32 s0, 10
	s_mov_b32 m0, s0
	s_sendmsg sendmsg(MSG_INTERRUPT)
	s_mov_b32 m0, ttmp2
.LBB2_932:                              ; =>This Inner Loop Header: Depth=1
	s_sethalt 5
	s_branch .LBB2_932
.LBB2_933:
	s_trap 2
	s_sendmsg_rtn_b32 s0, sendmsg(MSG_RTN_GET_DOORBELL)
	s_mov_b32 ttmp2, m0
	s_waitcnt lgkmcnt(0)
	s_and_b32 s0, s0, 0x3ff
	s_delay_alu instid0(SALU_CYCLE_1) | instskip(NEXT) | instid1(SALU_CYCLE_1)
	s_bitset1_b32 s0, 10
	s_mov_b32 m0, s0
	s_sendmsg sendmsg(MSG_INTERRUPT)
	s_mov_b32 m0, ttmp2
.LBB2_934:                              ; =>This Inner Loop Header: Depth=1
	s_sethalt 5
	s_branch .LBB2_934
.LBB2_935:
	s_trap 2
	s_sendmsg_rtn_b32 s0, sendmsg(MSG_RTN_GET_DOORBELL)
	s_mov_b32 ttmp2, m0
	s_waitcnt lgkmcnt(0)
	s_and_b32 s0, s0, 0x3ff
	s_delay_alu instid0(SALU_CYCLE_1) | instskip(NEXT) | instid1(SALU_CYCLE_1)
	s_bitset1_b32 s0, 10
	s_mov_b32 m0, s0
	s_sendmsg sendmsg(MSG_INTERRUPT)
	s_mov_b32 m0, ttmp2
.LBB2_936:                              ; =>This Inner Loop Header: Depth=1
	s_sethalt 5
	s_branch .LBB2_936
.LBB2_937:
	s_trap 2
	s_sendmsg_rtn_b32 s0, sendmsg(MSG_RTN_GET_DOORBELL)
	s_mov_b32 ttmp2, m0
	s_waitcnt lgkmcnt(0)
	s_and_b32 s0, s0, 0x3ff
	s_delay_alu instid0(SALU_CYCLE_1) | instskip(NEXT) | instid1(SALU_CYCLE_1)
	s_bitset1_b32 s0, 10
	s_mov_b32 m0, s0
	s_sendmsg sendmsg(MSG_INTERRUPT)
	s_mov_b32 m0, ttmp2
.LBB2_938:                              ; =>This Inner Loop Header: Depth=1
	s_sethalt 5
	s_branch .LBB2_938
.LBB2_939:
	s_trap 2
	s_sendmsg_rtn_b32 s0, sendmsg(MSG_RTN_GET_DOORBELL)
	s_mov_b32 ttmp2, m0
	s_waitcnt lgkmcnt(0)
	s_and_b32 s0, s0, 0x3ff
	s_delay_alu instid0(SALU_CYCLE_1) | instskip(NEXT) | instid1(SALU_CYCLE_1)
	s_bitset1_b32 s0, 10
	s_mov_b32 m0, s0
	s_sendmsg sendmsg(MSG_INTERRUPT)
	s_mov_b32 m0, ttmp2
.LBB2_940:                              ; =>This Inner Loop Header: Depth=1
	s_sethalt 5
	s_branch .LBB2_940
.LBB2_941:
	s_trap 2
	s_sendmsg_rtn_b32 s0, sendmsg(MSG_RTN_GET_DOORBELL)
	s_mov_b32 ttmp2, m0
	s_waitcnt lgkmcnt(0)
	s_and_b32 s0, s0, 0x3ff
	s_delay_alu instid0(SALU_CYCLE_1) | instskip(NEXT) | instid1(SALU_CYCLE_1)
	s_bitset1_b32 s0, 10
	s_mov_b32 m0, s0
	s_sendmsg sendmsg(MSG_INTERRUPT)
	s_mov_b32 m0, ttmp2
.LBB2_942:                              ; =>This Inner Loop Header: Depth=1
	s_sethalt 5
	s_branch .LBB2_942
.LBB2_943:
	s_trap 2
	s_sendmsg_rtn_b32 s0, sendmsg(MSG_RTN_GET_DOORBELL)
	s_mov_b32 ttmp2, m0
	s_waitcnt lgkmcnt(0)
	s_and_b32 s0, s0, 0x3ff
	s_delay_alu instid0(SALU_CYCLE_1) | instskip(NEXT) | instid1(SALU_CYCLE_1)
	s_bitset1_b32 s0, 10
	s_mov_b32 m0, s0
	s_sendmsg sendmsg(MSG_INTERRUPT)
	s_mov_b32 m0, ttmp2
.LBB2_944:                              ; =>This Inner Loop Header: Depth=1
	s_sethalt 5
	s_branch .LBB2_944
.LBB2_945:
	s_trap 2
	s_sendmsg_rtn_b32 s0, sendmsg(MSG_RTN_GET_DOORBELL)
	s_mov_b32 ttmp2, m0
	s_waitcnt lgkmcnt(0)
	s_and_b32 s0, s0, 0x3ff
	s_delay_alu instid0(SALU_CYCLE_1) | instskip(NEXT) | instid1(SALU_CYCLE_1)
	s_bitset1_b32 s0, 10
	s_mov_b32 m0, s0
	s_sendmsg sendmsg(MSG_INTERRUPT)
	s_mov_b32 m0, ttmp2
.LBB2_946:                              ; =>This Inner Loop Header: Depth=1
	s_sethalt 5
	s_branch .LBB2_946
.LBB2_947:
	s_trap 2
	s_sendmsg_rtn_b32 s0, sendmsg(MSG_RTN_GET_DOORBELL)
	s_mov_b32 ttmp2, m0
	s_waitcnt lgkmcnt(0)
	s_and_b32 s0, s0, 0x3ff
	s_delay_alu instid0(SALU_CYCLE_1) | instskip(NEXT) | instid1(SALU_CYCLE_1)
	s_bitset1_b32 s0, 10
	s_mov_b32 m0, s0
	s_sendmsg sendmsg(MSG_INTERRUPT)
	s_mov_b32 m0, ttmp2
.LBB2_948:                              ; =>This Inner Loop Header: Depth=1
	s_sethalt 5
	s_branch .LBB2_948
.LBB2_949:
	s_trap 2
	s_sendmsg_rtn_b32 s0, sendmsg(MSG_RTN_GET_DOORBELL)
	s_mov_b32 ttmp2, m0
	s_waitcnt lgkmcnt(0)
	s_and_b32 s0, s0, 0x3ff
	s_delay_alu instid0(SALU_CYCLE_1) | instskip(NEXT) | instid1(SALU_CYCLE_1)
	s_bitset1_b32 s0, 10
	s_mov_b32 m0, s0
	s_sendmsg sendmsg(MSG_INTERRUPT)
	s_mov_b32 m0, ttmp2
.LBB2_950:                              ; =>This Inner Loop Header: Depth=1
	s_sethalt 5
	s_branch .LBB2_950
.LBB2_951:
	s_trap 2
	s_sendmsg_rtn_b32 s0, sendmsg(MSG_RTN_GET_DOORBELL)
	s_mov_b32 ttmp2, m0
	s_waitcnt lgkmcnt(0)
	s_and_b32 s0, s0, 0x3ff
	s_delay_alu instid0(SALU_CYCLE_1) | instskip(NEXT) | instid1(SALU_CYCLE_1)
	s_bitset1_b32 s0, 10
	s_mov_b32 m0, s0
	s_sendmsg sendmsg(MSG_INTERRUPT)
	s_mov_b32 m0, ttmp2
.LBB2_952:                              ; =>This Inner Loop Header: Depth=1
	s_sethalt 5
	s_branch .LBB2_952
.LBB2_953:
	s_trap 2
	s_sendmsg_rtn_b32 s0, sendmsg(MSG_RTN_GET_DOORBELL)
	s_mov_b32 ttmp2, m0
	s_waitcnt lgkmcnt(0)
	s_and_b32 s0, s0, 0x3ff
	s_delay_alu instid0(SALU_CYCLE_1) | instskip(NEXT) | instid1(SALU_CYCLE_1)
	s_bitset1_b32 s0, 10
	s_mov_b32 m0, s0
	s_sendmsg sendmsg(MSG_INTERRUPT)
	s_mov_b32 m0, ttmp2
.LBB2_954:                              ; =>This Inner Loop Header: Depth=1
	s_sethalt 5
	s_branch .LBB2_954
.LBB2_955:
	s_trap 2
	s_sendmsg_rtn_b32 s0, sendmsg(MSG_RTN_GET_DOORBELL)
	s_mov_b32 ttmp2, m0
	s_waitcnt lgkmcnt(0)
	s_and_b32 s0, s0, 0x3ff
	s_delay_alu instid0(SALU_CYCLE_1) | instskip(NEXT) | instid1(SALU_CYCLE_1)
	s_bitset1_b32 s0, 10
	s_mov_b32 m0, s0
	s_sendmsg sendmsg(MSG_INTERRUPT)
	s_mov_b32 m0, ttmp2
.LBB2_956:                              ; =>This Inner Loop Header: Depth=1
	s_sethalt 5
	s_branch .LBB2_956
.LBB2_957:
	s_trap 2
	s_sendmsg_rtn_b32 s0, sendmsg(MSG_RTN_GET_DOORBELL)
	s_mov_b32 ttmp2, m0
	s_waitcnt lgkmcnt(0)
	s_and_b32 s0, s0, 0x3ff
	s_delay_alu instid0(SALU_CYCLE_1) | instskip(NEXT) | instid1(SALU_CYCLE_1)
	s_bitset1_b32 s0, 10
	s_mov_b32 m0, s0
	s_sendmsg sendmsg(MSG_INTERRUPT)
	s_mov_b32 m0, ttmp2
.LBB2_958:                              ; =>This Inner Loop Header: Depth=1
	s_sethalt 5
	s_branch .LBB2_958
.LBB2_959:
	s_trap 2
	s_sendmsg_rtn_b32 s0, sendmsg(MSG_RTN_GET_DOORBELL)
	s_mov_b32 ttmp2, m0
	s_waitcnt lgkmcnt(0)
	s_and_b32 s0, s0, 0x3ff
	s_delay_alu instid0(SALU_CYCLE_1) | instskip(NEXT) | instid1(SALU_CYCLE_1)
	s_bitset1_b32 s0, 10
	s_mov_b32 m0, s0
	s_sendmsg sendmsg(MSG_INTERRUPT)
	s_mov_b32 m0, ttmp2
.LBB2_960:                              ; =>This Inner Loop Header: Depth=1
	s_sethalt 5
	s_branch .LBB2_960
.LBB2_961:
	s_trap 2
	s_sendmsg_rtn_b32 s0, sendmsg(MSG_RTN_GET_DOORBELL)
	s_mov_b32 ttmp2, m0
	s_waitcnt lgkmcnt(0)
	s_and_b32 s0, s0, 0x3ff
	s_delay_alu instid0(SALU_CYCLE_1) | instskip(NEXT) | instid1(SALU_CYCLE_1)
	s_bitset1_b32 s0, 10
	s_mov_b32 m0, s0
	s_sendmsg sendmsg(MSG_INTERRUPT)
	s_mov_b32 m0, ttmp2
.LBB2_962:                              ; =>This Inner Loop Header: Depth=1
	s_sethalt 5
	s_branch .LBB2_962
.LBB2_963:
	s_trap 2
	s_sendmsg_rtn_b32 s0, sendmsg(MSG_RTN_GET_DOORBELL)
	s_mov_b32 ttmp2, m0
	s_waitcnt lgkmcnt(0)
	s_and_b32 s0, s0, 0x3ff
	s_delay_alu instid0(SALU_CYCLE_1) | instskip(NEXT) | instid1(SALU_CYCLE_1)
	s_bitset1_b32 s0, 10
	s_mov_b32 m0, s0
	s_sendmsg sendmsg(MSG_INTERRUPT)
	s_mov_b32 m0, ttmp2
.LBB2_964:                              ; =>This Inner Loop Header: Depth=1
	s_sethalt 5
	s_branch .LBB2_964
.LBB2_965:
	s_trap 2
	s_sendmsg_rtn_b32 s0, sendmsg(MSG_RTN_GET_DOORBELL)
	s_mov_b32 ttmp2, m0
	s_waitcnt lgkmcnt(0)
	s_and_b32 s0, s0, 0x3ff
	s_delay_alu instid0(SALU_CYCLE_1) | instskip(NEXT) | instid1(SALU_CYCLE_1)
	s_bitset1_b32 s0, 10
	s_mov_b32 m0, s0
	s_sendmsg sendmsg(MSG_INTERRUPT)
	s_mov_b32 m0, ttmp2
.LBB2_966:                              ; =>This Inner Loop Header: Depth=1
	s_sethalt 5
	s_branch .LBB2_966
.LBB2_967:
	s_trap 2
	s_sendmsg_rtn_b32 s0, sendmsg(MSG_RTN_GET_DOORBELL)
	s_mov_b32 ttmp2, m0
	s_waitcnt lgkmcnt(0)
	s_and_b32 s0, s0, 0x3ff
	s_delay_alu instid0(SALU_CYCLE_1) | instskip(NEXT) | instid1(SALU_CYCLE_1)
	s_bitset1_b32 s0, 10
	s_mov_b32 m0, s0
	s_sendmsg sendmsg(MSG_INTERRUPT)
	s_mov_b32 m0, ttmp2
.LBB2_968:                              ; =>This Inner Loop Header: Depth=1
	s_sethalt 5
	s_branch .LBB2_968
.LBB2_969:
	s_trap 2
	s_sendmsg_rtn_b32 s0, sendmsg(MSG_RTN_GET_DOORBELL)
	s_mov_b32 ttmp2, m0
	s_waitcnt lgkmcnt(0)
	s_and_b32 s0, s0, 0x3ff
	s_delay_alu instid0(SALU_CYCLE_1) | instskip(NEXT) | instid1(SALU_CYCLE_1)
	s_bitset1_b32 s0, 10
	s_mov_b32 m0, s0
	s_sendmsg sendmsg(MSG_INTERRUPT)
	s_mov_b32 m0, ttmp2
.LBB2_970:                              ; =>This Inner Loop Header: Depth=1
	s_sethalt 5
	s_branch .LBB2_970
.LBB2_971:
	s_trap 2
	s_sendmsg_rtn_b32 s0, sendmsg(MSG_RTN_GET_DOORBELL)
	s_mov_b32 ttmp2, m0
	s_waitcnt lgkmcnt(0)
	s_and_b32 s0, s0, 0x3ff
	s_delay_alu instid0(SALU_CYCLE_1) | instskip(NEXT) | instid1(SALU_CYCLE_1)
	s_bitset1_b32 s0, 10
	s_mov_b32 m0, s0
	s_sendmsg sendmsg(MSG_INTERRUPT)
	s_mov_b32 m0, ttmp2
.LBB2_972:                              ; =>This Inner Loop Header: Depth=1
	s_sethalt 5
	s_branch .LBB2_972
.LBB2_973:
	s_trap 2
	s_sendmsg_rtn_b32 s0, sendmsg(MSG_RTN_GET_DOORBELL)
	s_mov_b32 ttmp2, m0
	s_waitcnt lgkmcnt(0)
	s_and_b32 s0, s0, 0x3ff
	s_delay_alu instid0(SALU_CYCLE_1) | instskip(NEXT) | instid1(SALU_CYCLE_1)
	s_bitset1_b32 s0, 10
	s_mov_b32 m0, s0
	s_sendmsg sendmsg(MSG_INTERRUPT)
	s_mov_b32 m0, ttmp2
.LBB2_974:                              ; =>This Inner Loop Header: Depth=1
	s_sethalt 5
	s_branch .LBB2_974
.LBB2_975:
	s_trap 2
	s_sendmsg_rtn_b32 s0, sendmsg(MSG_RTN_GET_DOORBELL)
	s_mov_b32 ttmp2, m0
	s_waitcnt lgkmcnt(0)
	s_and_b32 s0, s0, 0x3ff
	s_delay_alu instid0(SALU_CYCLE_1) | instskip(NEXT) | instid1(SALU_CYCLE_1)
	s_bitset1_b32 s0, 10
	s_mov_b32 m0, s0
	s_sendmsg sendmsg(MSG_INTERRUPT)
	s_mov_b32 m0, ttmp2
.LBB2_976:                              ; =>This Inner Loop Header: Depth=1
	s_sethalt 5
	s_branch .LBB2_976
.LBB2_977:
	s_trap 2
	s_sendmsg_rtn_b32 s0, sendmsg(MSG_RTN_GET_DOORBELL)
	s_mov_b32 ttmp2, m0
	s_waitcnt lgkmcnt(0)
	s_and_b32 s0, s0, 0x3ff
	s_delay_alu instid0(SALU_CYCLE_1) | instskip(NEXT) | instid1(SALU_CYCLE_1)
	s_bitset1_b32 s0, 10
	s_mov_b32 m0, s0
	s_sendmsg sendmsg(MSG_INTERRUPT)
	s_mov_b32 m0, ttmp2
.LBB2_978:                              ; =>This Inner Loop Header: Depth=1
	s_sethalt 5
	s_branch .LBB2_978
.LBB2_979:
	s_trap 2
	s_sendmsg_rtn_b32 s0, sendmsg(MSG_RTN_GET_DOORBELL)
	s_mov_b32 ttmp2, m0
	s_waitcnt lgkmcnt(0)
	s_and_b32 s0, s0, 0x3ff
	s_delay_alu instid0(SALU_CYCLE_1) | instskip(NEXT) | instid1(SALU_CYCLE_1)
	s_bitset1_b32 s0, 10
	s_mov_b32 m0, s0
	s_sendmsg sendmsg(MSG_INTERRUPT)
	s_mov_b32 m0, ttmp2
.LBB2_980:                              ; =>This Inner Loop Header: Depth=1
	s_sethalt 5
	s_branch .LBB2_980
.LBB2_981:
	s_trap 2
	s_sendmsg_rtn_b32 s0, sendmsg(MSG_RTN_GET_DOORBELL)
	s_mov_b32 ttmp2, m0
	s_waitcnt lgkmcnt(0)
	s_and_b32 s0, s0, 0x3ff
	s_delay_alu instid0(SALU_CYCLE_1) | instskip(NEXT) | instid1(SALU_CYCLE_1)
	s_bitset1_b32 s0, 10
	s_mov_b32 m0, s0
	s_sendmsg sendmsg(MSG_INTERRUPT)
	s_mov_b32 m0, ttmp2
.LBB2_982:                              ; =>This Inner Loop Header: Depth=1
	s_sethalt 5
	s_branch .LBB2_982
.LBB2_983:
	s_trap 2
	s_sendmsg_rtn_b32 s0, sendmsg(MSG_RTN_GET_DOORBELL)
	s_mov_b32 ttmp2, m0
	s_waitcnt lgkmcnt(0)
	s_and_b32 s0, s0, 0x3ff
	s_delay_alu instid0(SALU_CYCLE_1) | instskip(NEXT) | instid1(SALU_CYCLE_1)
	s_bitset1_b32 s0, 10
	s_mov_b32 m0, s0
	s_sendmsg sendmsg(MSG_INTERRUPT)
	s_mov_b32 m0, ttmp2
.LBB2_984:                              ; =>This Inner Loop Header: Depth=1
	s_sethalt 5
	s_branch .LBB2_984
.Lfunc_end2:
	.size	_ZN12_GLOBAL__N_17runRingIa7FuncSumIaE11ProtoSimpleILi2ELi2ELi0ELi1ELi0ELi0EELi0ELi1ELi0EEEviiP15ncclDevWorkColl, .Lfunc_end2-_ZN12_GLOBAL__N_17runRingIa7FuncSumIaE11ProtoSimpleILi2ELi2ELi0ELi1ELi0ELi0EELi0ELi1ELi0EEEviiP15ncclDevWorkColl
                                        ; -- End function
	.section	.AMDGPU.csdata,"",@progbits
; Function info:
; codeLenInByte = 30280
; NumSgprs: 44
; NumVgprs: 163
; ScratchSize: 80
; MemoryBound: 0
	.text
	.p2align	2                               ; -- Begin function _Z50ncclDevFunc_AlltoAllPivot_RING_SIMPLE_Sum_i8_0_0_1v
	.type	_Z50ncclDevFunc_AlltoAllPivot_RING_SIMPLE_Sum_i8_0_0_1v,@function
_Z50ncclDevFunc_AlltoAllPivot_RING_SIMPLE_Sum_i8_0_0_1v: ; @_Z50ncclDevFunc_AlltoAllPivot_RING_SIMPLE_Sum_i8_0_0_1v
; %bb.0:
	s_waitcnt vmcnt(0) expcnt(0) lgkmcnt(0)
	s_mov_b32 s0, s33
	s_mov_b32 s33, s32
	s_or_saveexec_b32 s1, -1
	scratch_store_b32 off, v40, s33 offset:4 ; 4-byte Folded Spill
	s_mov_b32 exec_lo, s1
	v_writelane_b32 v40, s0, 16
	s_add_i32 s32, s32, 16
	scratch_store_b32 off, v41, s33         ; 4-byte Folded Spill
	v_writelane_b32 v40, s34, 0
	v_writelane_b32 v40, s35, 1
	;; [unrolled: 1-line block ×16, first 2 shown]
	s_cbranch_execnz .LBB3_13
; %bb.1:
	ds_load_b32 v0, v0
	s_waitcnt lgkmcnt(0)
	v_cmp_gt_i32_e32 vcc_lo, 1, v0
	s_cbranch_vccnz .LBB3_12
; %bb.2:
	v_and_b32_e32 v163, 0x3ff, v31
	s_mov_b32 s46, 0
	s_mov_b64 s[44:45], src_shared_base
.LBB3_3:                                ; =>This Inner Loop Header: Depth=1
	s_cbranch_execnz .LBB3_15
; %bb.4:                                ;   in Loop: Header=BB3_3 Depth=1
	ds_load_b32 v0, v0
	s_cmp_eq_u32 s46, 0
	s_cbranch_scc1 .LBB3_8
; %bb.5:                                ;   in Loop: Header=BB3_3 Depth=1
	s_cbranch_execnz .LBB3_19
; %bb.6:                                ;   in Loop: Header=BB3_3 Depth=1
	s_waitcnt lgkmcnt(0)
	ds_load_b32 v1, v0
	s_waitcnt lgkmcnt(0)
	v_xor_b32_e32 v1, v1, v0
	s_delay_alu instid0(VALU_DEP_1) | instskip(NEXT) | instid1(VALU_DEP_1)
	v_and_b32_e32 v1, 0xff0000, v1
	v_cmp_eq_u32_e32 vcc_lo, 0, v1
	s_cbranch_vccnz .LBB3_8
; %bb.7:                                ;   in Loop: Header=BB3_3 Depth=1
	s_waitcnt_vscnt null, 0x0
	s_barrier
	buffer_gl0_inv
	ds_load_b32 v0, v0
.LBB3_8:                                ;   in Loop: Header=BB3_3 Depth=1
	s_waitcnt lgkmcnt(0)
	v_lshrrev_b32_e32 v0, 11, v0
	s_mov_b32 s47, exec_lo
	s_delay_alu instid0(VALU_DEP_1) | instskip(NEXT) | instid1(VALU_DEP_1)
	v_and_b32_e32 v1, 0x1fe0, v0
	v_cmpx_lt_u32_e64 v163, v1
	s_cbranch_execz .LBB3_10
; %bb.9:                                ;   in Loop: Header=BB3_3 Depth=1
	v_dual_mov_b32 v164, v31 :: v_dual_mov_b32 v3, s45
	v_mov_b32_e32 v0, v163
	s_getpc_b64 s[0:1]
	s_add_u32 s0, s0, _ZN12_GLOBAL__N_17runRingIa7FuncSumIaE11ProtoSimpleILi2ELi2ELi0ELi1ELi0ELi0EELi0ELi1ELi0EEEviiP15ncclDevWorkColl@rel32@lo+4
	s_addc_u32 s1, s1, _ZN12_GLOBAL__N_17runRingIa7FuncSumIaE11ProtoSimpleILi2ELi2ELi0ELi1ELi0ELi0EELi0ELi1ELi0EEEviiP15ncclDevWorkColl@rel32@hi+12
	s_mov_b64 s[42:43], s[8:9]
	s_mov_b32 s44, s12
	s_swappc_b64 s[30:31], s[0:1]
	v_mov_b32_e32 v31, v164
	s_mov_b32 s12, s44
	s_mov_b64 s[8:9], s[42:43]
.LBB3_10:                               ;   in Loop: Header=BB3_3 Depth=1
	s_or_b32 exec_lo, exec_lo, s47
	s_cbranch_execnz .LBB3_17
; %bb.11:                               ;   in Loop: Header=BB3_3 Depth=1
	ds_load_b32 v0, v0
	s_add_i32 s46, s46, 1
	s_waitcnt lgkmcnt(0)
	v_cmp_lt_i32_e32 vcc_lo, s46, v0
	s_cbranch_vccnz .LBB3_3
.LBB3_12:
	scratch_load_b32 v41, off, s33          ; 4-byte Folded Reload
	v_readlane_b32 s30, v40, 14
	v_readlane_b32 s31, v40, 15
	;; [unrolled: 1-line block ×17, first 2 shown]
	s_or_saveexec_b32 s1, -1
	scratch_load_b32 v40, off, s33 offset:4 ; 4-byte Folded Reload
	s_mov_b32 exec_lo, s1
	s_add_i32 s32, s32, -16
	s_mov_b32 s33, s0
	s_waitcnt vmcnt(0)
	s_setpc_b64 s[30:31]
.LBB3_13:
	s_trap 2
	s_sendmsg_rtn_b32 s0, sendmsg(MSG_RTN_GET_DOORBELL)
	s_mov_b32 ttmp2, m0
	s_waitcnt lgkmcnt(0)
	s_and_b32 s0, s0, 0x3ff
	s_delay_alu instid0(SALU_CYCLE_1) | instskip(NEXT) | instid1(SALU_CYCLE_1)
	s_bitset1_b32 s0, 10
	s_mov_b32 m0, s0
	s_sendmsg sendmsg(MSG_INTERRUPT)
	s_mov_b32 m0, ttmp2
.LBB3_14:                               ; =>This Inner Loop Header: Depth=1
	s_sethalt 5
	s_branch .LBB3_14
.LBB3_15:
	s_trap 2
	s_sendmsg_rtn_b32 s0, sendmsg(MSG_RTN_GET_DOORBELL)
	s_mov_b32 ttmp2, m0
	s_waitcnt lgkmcnt(0)
	s_and_b32 s0, s0, 0x3ff
	s_delay_alu instid0(SALU_CYCLE_1) | instskip(NEXT) | instid1(SALU_CYCLE_1)
	s_bitset1_b32 s0, 10
	s_mov_b32 m0, s0
	s_sendmsg sendmsg(MSG_INTERRUPT)
	s_mov_b32 m0, ttmp2
.LBB3_16:                               ; =>This Inner Loop Header: Depth=1
	s_sethalt 5
	s_branch .LBB3_16
.LBB3_17:
	s_trap 2
	s_sendmsg_rtn_b32 s0, sendmsg(MSG_RTN_GET_DOORBELL)
	s_mov_b32 ttmp2, m0
	s_waitcnt lgkmcnt(0)
	s_and_b32 s0, s0, 0x3ff
	s_delay_alu instid0(SALU_CYCLE_1) | instskip(NEXT) | instid1(SALU_CYCLE_1)
	s_bitset1_b32 s0, 10
	s_mov_b32 m0, s0
	s_sendmsg sendmsg(MSG_INTERRUPT)
	s_mov_b32 m0, ttmp2
.LBB3_18:                               ; =>This Inner Loop Header: Depth=1
	s_sethalt 5
	s_branch .LBB3_18
.LBB3_19:
	s_trap 2
	s_sendmsg_rtn_b32 s0, sendmsg(MSG_RTN_GET_DOORBELL)
	s_mov_b32 ttmp2, m0
	s_waitcnt lgkmcnt(0)
	s_and_b32 s0, s0, 0x3ff
	s_delay_alu instid0(SALU_CYCLE_1) | instskip(NEXT) | instid1(SALU_CYCLE_1)
	s_bitset1_b32 s0, 10
	s_mov_b32 m0, s0
	s_sendmsg sendmsg(MSG_INTERRUPT)
	s_mov_b32 m0, ttmp2
.LBB3_20:                               ; =>This Inner Loop Header: Depth=1
	s_sethalt 5
	s_branch .LBB3_20
.Lfunc_end3:
	.size	_Z50ncclDevFunc_AlltoAllPivot_RING_SIMPLE_Sum_i8_0_0_1v, .Lfunc_end3-_Z50ncclDevFunc_AlltoAllPivot_RING_SIMPLE_Sum_i8_0_0_1v
                                        ; -- End function
	.section	.AMDGPU.csdata,"",@progbits
; Function info:
; codeLenInByte = 812
; NumSgprs: 50
; NumVgprs: 165
; ScratchSize: 96
; MemoryBound: 0
	.text
	.p2align	2                               ; -- Begin function _ZN12_GLOBAL__N_17runRingIa7FuncSumIaE11ProtoSimpleILi2ELi2ELi0ELi2ELi0ELi0EELi0ELi2ELi0EEEviiP15ncclDevWorkColl
	.type	_ZN12_GLOBAL__N_17runRingIa7FuncSumIaE11ProtoSimpleILi2ELi2ELi0ELi2ELi0ELi0EELi0ELi2ELi0EEEviiP15ncclDevWorkColl,@function
_ZN12_GLOBAL__N_17runRingIa7FuncSumIaE11ProtoSimpleILi2ELi2ELi0ELi2ELi0ELi0EELi0ELi2ELi0EEEviiP15ncclDevWorkColl: ; @_ZN12_GLOBAL__N_17runRingIa7FuncSumIaE11ProtoSimpleILi2ELi2ELi0ELi2ELi0ELi0EELi0ELi2ELi0EEEviiP15ncclDevWorkColl
; %bb.0:
	s_waitcnt vmcnt(0) expcnt(0) lgkmcnt(0)
	s_mov_b32 s0, s33
	s_mov_b32 s33, s32
	s_or_saveexec_b32 s1, -1
	scratch_store_b32 off, v41, s33 offset:4 ; 4-byte Folded Spill
	s_mov_b32 exec_lo, s1
	v_writelane_b32 v41, s0, 10
	s_add_i32 s32, s32, 16
	scratch_store_b32 off, v40, s33         ; 4-byte Folded Spill
	v_writelane_b32 v41, s34, 0
	v_writelane_b32 v41, s35, 1
	;; [unrolled: 1-line block ×10, first 2 shown]
	s_cbranch_execnz .LBB4_704
; %bb.1:
	s_clause 0x2
	flat_load_b32 v10, v[2:3]
	flat_load_b128 v[4:7], v[2:3] offset:72
	flat_load_b64 v[8:9], v[2:3] offset:88
	ds_load_b32 v14, v0
	s_mov_b32 s0, exec_lo
                                        ; implicit-def: $vgpr27_vgpr28
	s_waitcnt lgkmcnt(0)
	v_readfirstlane_b32 s13, v14
	s_waitcnt vmcnt(2)
	v_and_b32_e32 v12, 0xff, v10
	v_bfe_u32 v13, v10, 8, 8
	s_delay_alu instid0(VALU_DEP_2)
	v_cmpx_ne_u32_e64 v14, v12
	s_xor_b32 s0, exec_lo, s0
	s_cbranch_execz .LBB4_7
; %bb.2:
	flat_load_b64 v[10:11], v[2:3] offset:96
	s_mov_b32 s1, exec_lo
                                        ; implicit-def: $vgpr27_vgpr28
	v_cmpx_ne_u32_e64 v13, v14
	s_xor_b32 s1, exec_lo, s1
	s_cbranch_execz .LBB4_4
; %bb.3:
	s_waitcnt vmcnt(0) lgkmcnt(0)
	v_lshrrev_b64 v[27:28], 12, v[10:11]
                                        ; implicit-def: $vgpr10_vgpr11
.LBB4_4:
	s_and_not1_saveexec_b32 s1, s1
	s_cbranch_execz .LBB4_6
; %bb.5:
	s_waitcnt vmcnt(0) lgkmcnt(0)
	v_lshrrev_b32_e32 v27, 1, v11
.LBB4_6:
	s_or_b32 exec_lo, exec_lo, s1
.LBB4_7:
	s_and_not1_saveexec_b32 s0, s0
	s_cbranch_execz .LBB4_9
; %bb.8:
	s_waitcnt vmcnt(0) lgkmcnt(0)
	flat_load_b64 v[10:11], v[2:3] offset:96
	s_waitcnt vmcnt(0) lgkmcnt(0)
	v_lshlrev_b64 v[27:28], 9, v[10:11]
.LBB4_9:
	s_or_b32 exec_lo, exec_lo, s0
	flat_load_u16 v15, v[2:3] offset:8
	v_xad_u32 v16, v12, -1, v13
	v_sub_nc_u32_e32 v26, v14, v12
                                        ; implicit-def: $vgpr28_vgpr29
	s_mov_b32 s0, exec_lo
	s_delay_alu instid0(VALU_DEP_2)
	v_ashrrev_i32_e32 v17, 31, v16
	s_waitcnt vmcnt(2)
	v_mul_lo_u32 v7, v7, v16
	s_waitcnt vmcnt(1) lgkmcnt(1)
	v_mad_u64_u32 v[10:11], null, v6, v16, v[4:5]
	v_mul_lo_u32 v4, v6, v17
	s_delay_alu instid0(VALU_DEP_2) | instskip(NEXT) | instid1(VALU_DEP_2)
	v_add_co_u32 v39, vcc_lo, v10, v8
	v_add3_u32 v4, v7, v11, v4
	s_delay_alu instid0(VALU_DEP_1) | instskip(NEXT) | instid1(VALU_DEP_3)
	v_add_co_ci_u32_e32 v85, vcc_lo, v4, v9, vcc_lo
	v_sub_co_u32 v6, vcc_lo, 0, v39
	v_sub_nc_u32_e32 v9, 0, v26
	s_delay_alu instid0(VALU_DEP_3) | instskip(NEXT) | instid1(VALU_DEP_3)
	v_sub_co_ci_u32_e32 v4, vcc_lo, 0, v85, vcc_lo
	v_and_b32_e32 v6, v39, v6
	s_delay_alu instid0(VALU_DEP_3) | instskip(NEXT) | instid1(VALU_DEP_3)
	v_max_i32_e32 v35, v26, v9
	v_and_b32_e32 v4, v85, v4
	s_delay_alu instid0(VALU_DEP_3) | instskip(NEXT) | instid1(VALU_DEP_2)
	v_cvt_f64_u32_e32 v[6:7], v6
	v_cvt_f64_u32_e32 v[4:5], v4
	s_delay_alu instid0(VALU_DEP_1) | instskip(NEXT) | instid1(VALU_DEP_1)
	v_ldexp_f64 v[4:5], v[4:5], 32
	v_add_f64 v[4:5], v[4:5], v[6:7]
	s_delay_alu instid0(VALU_DEP_1) | instskip(NEXT) | instid1(VALU_DEP_1)
	v_min_f64 v[4:5], 0x40700000, v[4:5]
	v_cvt_i32_f64_e32 v50, v[4:5]
	s_delay_alu instid0(VALU_DEP_1) | instskip(SKIP_2) | instid1(VALU_DEP_1)
	v_ashrrev_i32_e32 v51, 31, v50
	s_waitcnt vmcnt(0) lgkmcnt(0)
	v_lshrrev_b32_e32 v34, 1, v15
	v_lshlrev_b32_e32 v7, 1, v34
	s_delay_alu instid0(VALU_DEP_1) | instskip(NEXT) | instid1(VALU_DEP_1)
	v_sub_nc_u32_e32 v6, 0, v7
	v_max_i32_e32 v4, v7, v6
	v_or_b32_e32 v6, v85, v51
	s_delay_alu instid0(VALU_DEP_2) | instskip(NEXT) | instid1(VALU_DEP_1)
	v_cvt_f32_u32_e32 v5, v4
	v_rcp_iflag_f32_e32 v5, v5
	s_waitcnt_depctr 0xfff
	v_mul_f32_e32 v5, 0x4f7ffffe, v5
	s_delay_alu instid0(VALU_DEP_1) | instskip(SKIP_1) | instid1(VALU_DEP_1)
	v_cvt_u32_f32_e32 v8, v5
	v_sub_nc_u32_e32 v5, 0, v4
	v_mul_lo_u32 v5, v5, v8
	s_delay_alu instid0(VALU_DEP_1) | instskip(NEXT) | instid1(VALU_DEP_1)
	v_mul_hi_u32 v10, v8, v5
	v_dual_mov_b32 v5, 0 :: v_dual_add_nc_u32 v8, v8, v10
	s_delay_alu instid0(VALU_DEP_1)
	v_cmpx_ne_u64_e32 0, v[5:6]
	s_xor_b32 s1, exec_lo, s0
	s_cbranch_execz .LBB4_11
; %bb.10:
	v_cvt_f32_u32_e32 v5, v50
	v_cvt_f32_u32_e32 v6, v51
	v_sub_co_u32 v11, vcc_lo, 0, v50
	v_sub_co_ci_u32_e32 v16, vcc_lo, 0, v51, vcc_lo
	s_delay_alu instid0(VALU_DEP_3) | instskip(NEXT) | instid1(VALU_DEP_1)
	v_fmamk_f32 v5, v6, 0x4f800000, v5
	v_rcp_f32_e32 v5, v5
	s_waitcnt_depctr 0xfff
	v_mul_f32_e32 v5, 0x5f7ffffc, v5
	s_delay_alu instid0(VALU_DEP_1) | instskip(NEXT) | instid1(VALU_DEP_1)
	v_mul_f32_e32 v6, 0x2f800000, v5
	v_trunc_f32_e32 v6, v6
	s_delay_alu instid0(VALU_DEP_1) | instskip(SKIP_1) | instid1(VALU_DEP_2)
	v_fmamk_f32 v5, v6, 0xcf800000, v5
	v_cvt_u32_f32_e32 v17, v6
	v_cvt_u32_f32_e32 v18, v5
	s_delay_alu instid0(VALU_DEP_2) | instskip(NEXT) | instid1(VALU_DEP_2)
	v_mul_lo_u32 v9, v11, v17
	v_mul_lo_u32 v10, v16, v18
	v_mad_u64_u32 v[5:6], null, v11, v18, 0
	s_delay_alu instid0(VALU_DEP_1) | instskip(NEXT) | instid1(VALU_DEP_2)
	v_add3_u32 v19, v6, v9, v10
	v_mul_hi_u32 v20, v18, v5
	v_mad_u64_u32 v[14:15], null, v17, v5, 0
	s_delay_alu instid0(VALU_DEP_3) | instskip(SKIP_1) | instid1(VALU_DEP_2)
	v_mad_u64_u32 v[9:10], null, v18, v19, 0
	v_mad_u64_u32 v[5:6], null, v17, v19, 0
	v_add_co_u32 v9, vcc_lo, v20, v9
	s_delay_alu instid0(VALU_DEP_3) | instskip(NEXT) | instid1(VALU_DEP_2)
	v_add_co_ci_u32_e32 v10, vcc_lo, 0, v10, vcc_lo
	v_add_co_u32 v9, vcc_lo, v9, v14
	s_delay_alu instid0(VALU_DEP_2) | instskip(SKIP_1) | instid1(VALU_DEP_2)
	v_add_co_ci_u32_e32 v9, vcc_lo, v10, v15, vcc_lo
	v_add_co_ci_u32_e32 v6, vcc_lo, 0, v6, vcc_lo
	v_add_co_u32 v5, vcc_lo, v9, v5
	s_delay_alu instid0(VALU_DEP_2) | instskip(NEXT) | instid1(VALU_DEP_2)
	v_add_co_ci_u32_e32 v6, vcc_lo, 0, v6, vcc_lo
	v_add_co_u32 v18, vcc_lo, v18, v5
	s_delay_alu instid0(VALU_DEP_2) | instskip(NEXT) | instid1(VALU_DEP_2)
	v_add_co_ci_u32_e32 v17, vcc_lo, v17, v6, vcc_lo
	v_mul_lo_u32 v9, v16, v18
	v_mad_u64_u32 v[5:6], null, v11, v18, 0
	s_delay_alu instid0(VALU_DEP_3) | instskip(NEXT) | instid1(VALU_DEP_2)
	v_mul_lo_u32 v10, v11, v17
	v_mul_hi_u32 v16, v18, v5
	v_mad_u64_u32 v[14:15], null, v17, v5, 0
	s_delay_alu instid0(VALU_DEP_3) | instskip(NEXT) | instid1(VALU_DEP_1)
	v_add3_u32 v11, v6, v10, v9
	v_mad_u64_u32 v[9:10], null, v18, v11, 0
	v_mad_u64_u32 v[5:6], null, v17, v11, 0
	s_delay_alu instid0(VALU_DEP_2) | instskip(NEXT) | instid1(VALU_DEP_3)
	v_add_co_u32 v9, vcc_lo, v16, v9
	v_add_co_ci_u32_e32 v10, vcc_lo, 0, v10, vcc_lo
	s_delay_alu instid0(VALU_DEP_2) | instskip(NEXT) | instid1(VALU_DEP_2)
	v_add_co_u32 v9, vcc_lo, v9, v14
	v_add_co_ci_u32_e32 v9, vcc_lo, v10, v15, vcc_lo
	v_add_co_ci_u32_e32 v6, vcc_lo, 0, v6, vcc_lo
	s_delay_alu instid0(VALU_DEP_2) | instskip(NEXT) | instid1(VALU_DEP_2)
	v_add_co_u32 v5, vcc_lo, v9, v5
	v_add_co_ci_u32_e32 v6, vcc_lo, 0, v6, vcc_lo
	s_delay_alu instid0(VALU_DEP_2) | instskip(NEXT) | instid1(VALU_DEP_2)
	v_add_co_u32 v11, vcc_lo, v18, v5
	v_add_co_ci_u32_e32 v16, vcc_lo, v17, v6, vcc_lo
	s_delay_alu instid0(VALU_DEP_2) | instskip(SKIP_1) | instid1(VALU_DEP_3)
	v_mul_hi_u32 v17, v39, v11
	v_mad_u64_u32 v[9:10], null, v85, v11, 0
	v_mad_u64_u32 v[5:6], null, v39, v16, 0
	;; [unrolled: 1-line block ×3, first 2 shown]
	s_delay_alu instid0(VALU_DEP_2) | instskip(NEXT) | instid1(VALU_DEP_3)
	v_add_co_u32 v5, vcc_lo, v17, v5
	v_add_co_ci_u32_e32 v6, vcc_lo, 0, v6, vcc_lo
	s_delay_alu instid0(VALU_DEP_2) | instskip(NEXT) | instid1(VALU_DEP_2)
	v_add_co_u32 v5, vcc_lo, v5, v9
	v_add_co_ci_u32_e32 v5, vcc_lo, v6, v10, vcc_lo
	v_add_co_ci_u32_e32 v6, vcc_lo, 0, v15, vcc_lo
	s_delay_alu instid0(VALU_DEP_2) | instskip(NEXT) | instid1(VALU_DEP_2)
	v_add_co_u32 v9, vcc_lo, v5, v14
	v_add_co_ci_u32_e32 v10, vcc_lo, 0, v6, vcc_lo
	s_delay_alu instid0(VALU_DEP_2) | instskip(SKIP_1) | instid1(VALU_DEP_3)
	v_mul_lo_u32 v11, v51, v9
	v_mad_u64_u32 v[5:6], null, v50, v9, 0
	v_mul_lo_u32 v14, v50, v10
	s_delay_alu instid0(VALU_DEP_2) | instskip(NEXT) | instid1(VALU_DEP_2)
	v_sub_co_u32 v5, vcc_lo, v39, v5
	v_add3_u32 v6, v6, v14, v11
	s_delay_alu instid0(VALU_DEP_1) | instskip(NEXT) | instid1(VALU_DEP_1)
	v_sub_nc_u32_e32 v11, v85, v6
	v_sub_co_ci_u32_e64 v11, s0, v11, v51, vcc_lo
	v_add_co_u32 v14, s0, v9, 2
	s_delay_alu instid0(VALU_DEP_1) | instskip(SKIP_3) | instid1(VALU_DEP_3)
	v_add_co_ci_u32_e64 v15, s0, 0, v10, s0
	v_sub_co_u32 v16, s0, v5, v50
	v_sub_co_ci_u32_e32 v6, vcc_lo, v85, v6, vcc_lo
	v_subrev_co_ci_u32_e64 v11, s0, 0, v11, s0
	v_cmp_ge_u32_e32 vcc_lo, v16, v50
	s_delay_alu instid0(VALU_DEP_3) | instskip(SKIP_1) | instid1(VALU_DEP_4)
	v_cmp_eq_u32_e64 s0, v6, v51
	v_cndmask_b32_e64 v16, 0, -1, vcc_lo
	v_cmp_ge_u32_e32 vcc_lo, v11, v51
	v_cndmask_b32_e64 v17, 0, -1, vcc_lo
	v_cmp_ge_u32_e32 vcc_lo, v5, v50
	;; [unrolled: 2-line block ×3, first 2 shown]
	v_cndmask_b32_e64 v18, 0, -1, vcc_lo
	v_cmp_eq_u32_e32 vcc_lo, v11, v51
	s_delay_alu instid0(VALU_DEP_2) | instskip(SKIP_3) | instid1(VALU_DEP_3)
	v_cndmask_b32_e64 v5, v18, v5, s0
	v_cndmask_b32_e32 v11, v17, v16, vcc_lo
	v_add_co_u32 v16, vcc_lo, v9, 1
	v_add_co_ci_u32_e32 v17, vcc_lo, 0, v10, vcc_lo
	v_cmp_ne_u32_e32 vcc_lo, 0, v11
	s_delay_alu instid0(VALU_DEP_2) | instskip(SKIP_1) | instid1(VALU_DEP_2)
	v_dual_cndmask_b32 v6, v17, v15 :: v_dual_cndmask_b32 v11, v16, v14
	v_cmp_ne_u32_e32 vcc_lo, 0, v5
	v_dual_cndmask_b32 v29, v10, v6 :: v_dual_cndmask_b32 v28, v9, v11
.LBB4_11:
	s_or_saveexec_b32 s0, s1
	v_mad_u64_u32 v[5:6], null, v35, v8, 0
	s_xor_b32 exec_lo, exec_lo, s0
	s_cbranch_execz .LBB4_13
; %bb.12:
	v_cvt_f32_u32_e32 v5, v50
	v_sub_nc_u32_e32 v8, 0, v50
	v_mov_b32_e32 v29, 0
	s_delay_alu instid0(VALU_DEP_3) | instskip(SKIP_2) | instid1(VALU_DEP_1)
	v_rcp_iflag_f32_e32 v5, v5
	s_waitcnt_depctr 0xfff
	v_mul_f32_e32 v5, 0x4f7ffffe, v5
	v_cvt_u32_f32_e32 v5, v5
	s_delay_alu instid0(VALU_DEP_1) | instskip(NEXT) | instid1(VALU_DEP_1)
	v_mul_lo_u32 v8, v8, v5
	v_mul_hi_u32 v8, v5, v8
	s_delay_alu instid0(VALU_DEP_1) | instskip(NEXT) | instid1(VALU_DEP_1)
	v_add_nc_u32_e32 v5, v5, v8
	v_mul_hi_u32 v5, v39, v5
	s_delay_alu instid0(VALU_DEP_1) | instskip(SKIP_1) | instid1(VALU_DEP_2)
	v_mul_lo_u32 v8, v5, v50
	v_add_nc_u32_e32 v9, 1, v5
	v_sub_nc_u32_e32 v8, v39, v8
	s_delay_alu instid0(VALU_DEP_1) | instskip(SKIP_1) | instid1(VALU_DEP_2)
	v_sub_nc_u32_e32 v10, v8, v50
	v_cmp_ge_u32_e32 vcc_lo, v8, v50
	v_dual_cndmask_b32 v8, v8, v10 :: v_dual_cndmask_b32 v5, v5, v9
	s_delay_alu instid0(VALU_DEP_1) | instskip(NEXT) | instid1(VALU_DEP_2)
	v_cmp_ge_u32_e32 vcc_lo, v8, v50
	v_add_nc_u32_e32 v9, 1, v5
	s_delay_alu instid0(VALU_DEP_1)
	v_cndmask_b32_e32 v28, v5, v9, vcc_lo
.LBB4_13:
	s_or_b32 exec_lo, exec_lo, s0
	v_sub_nc_u32_e32 v5, v13, v12
                                        ; implicit-def: $vgpr48_vgpr49
	s_mov_b32 s0, exec_lo
	s_delay_alu instid0(VALU_DEP_1) | instskip(NEXT) | instid1(VALU_DEP_1)
	v_add_nc_u16 v5, v5, 1
	v_lshrrev_b16 v8, 15, v5
	s_delay_alu instid0(VALU_DEP_1) | instskip(SKIP_1) | instid1(VALU_DEP_2)
	v_add_nc_u16 v5, v5, v8
	v_mov_b32_e32 v8, 0
	v_ashrrev_i16 v5, 1, v5
	s_delay_alu instid0(VALU_DEP_1) | instskip(NEXT) | instid1(VALU_DEP_1)
	v_bfe_i32 v36, v5, 0, 16
	v_ashrrev_i32_e32 v5, 31, v36
	s_delay_alu instid0(VALU_DEP_1) | instskip(NEXT) | instid1(VALU_DEP_1)
	v_or_b32_e32 v9, v29, v5
	v_cmpx_ne_u64_e32 0, v[8:9]
	s_xor_b32 s1, exec_lo, s0
	s_cbranch_execz .LBB4_15
; %bb.14:
	v_mov_b32_e32 v15, v5
	v_mov_b32_e32 v16, v5
	s_delay_alu instid0(VALU_DEP_2) | instskip(NEXT) | instid1(VALU_DEP_2)
	v_add_co_u32 v8, vcc_lo, v36, v15
	v_add_co_ci_u32_e32 v5, vcc_lo, v5, v16, vcc_lo
	s_delay_alu instid0(VALU_DEP_2) | instskip(NEXT) | instid1(VALU_DEP_2)
	v_xor_b32_e32 v17, v8, v15
	v_xor_b32_e32 v5, v5, v16
	s_delay_alu instid0(VALU_DEP_2) | instskip(SKIP_1) | instid1(VALU_DEP_3)
	v_cvt_f32_u32_e32 v8, v17
	v_sub_co_u32 v18, vcc_lo, 0, v17
	v_cvt_f32_u32_e32 v9, v5
	v_sub_co_ci_u32_e32 v19, vcc_lo, 0, v5, vcc_lo
	s_delay_alu instid0(VALU_DEP_2) | instskip(NEXT) | instid1(VALU_DEP_1)
	v_fmamk_f32 v8, v9, 0x4f800000, v8
	v_rcp_f32_e32 v8, v8
	s_waitcnt_depctr 0xfff
	v_mul_f32_e32 v8, 0x5f7ffffc, v8
	s_delay_alu instid0(VALU_DEP_1) | instskip(NEXT) | instid1(VALU_DEP_1)
	v_mul_f32_e32 v9, 0x2f800000, v8
	v_trunc_f32_e32 v9, v9
	s_delay_alu instid0(VALU_DEP_1) | instskip(SKIP_1) | instid1(VALU_DEP_2)
	v_fmamk_f32 v8, v9, 0xcf800000, v8
	v_cvt_u32_f32_e32 v20, v9
	v_cvt_u32_f32_e32 v21, v8
	s_delay_alu instid0(VALU_DEP_2) | instskip(NEXT) | instid1(VALU_DEP_2)
	v_mul_lo_u32 v10, v18, v20
	v_mul_lo_u32 v11, v19, v21
	v_mad_u64_u32 v[8:9], null, v18, v21, 0
	s_delay_alu instid0(VALU_DEP_1) | instskip(NEXT) | instid1(VALU_DEP_2)
	v_add3_u32 v22, v9, v10, v11
	v_mul_hi_u32 v23, v21, v8
	v_mad_u64_u32 v[11:12], null, v20, v8, 0
	s_delay_alu instid0(VALU_DEP_3) | instskip(SKIP_1) | instid1(VALU_DEP_2)
	v_mad_u64_u32 v[9:10], null, v21, v22, 0
	v_mad_u64_u32 v[13:14], null, v20, v22, 0
	v_add_co_u32 v8, vcc_lo, v23, v9
	s_delay_alu instid0(VALU_DEP_3) | instskip(NEXT) | instid1(VALU_DEP_2)
	v_add_co_ci_u32_e32 v9, vcc_lo, 0, v10, vcc_lo
	v_add_co_u32 v8, vcc_lo, v8, v11
	s_delay_alu instid0(VALU_DEP_2) | instskip(SKIP_1) | instid1(VALU_DEP_2)
	v_add_co_ci_u32_e32 v8, vcc_lo, v9, v12, vcc_lo
	v_add_co_ci_u32_e32 v9, vcc_lo, 0, v14, vcc_lo
	v_add_co_u32 v8, vcc_lo, v8, v13
	s_delay_alu instid0(VALU_DEP_2) | instskip(NEXT) | instid1(VALU_DEP_2)
	v_add_co_ci_u32_e32 v9, vcc_lo, 0, v9, vcc_lo
	v_add_co_u32 v21, vcc_lo, v21, v8
	s_delay_alu instid0(VALU_DEP_2) | instskip(NEXT) | instid1(VALU_DEP_2)
	v_add_co_ci_u32_e32 v20, vcc_lo, v20, v9, vcc_lo
	v_mul_lo_u32 v10, v19, v21
	v_mad_u64_u32 v[8:9], null, v18, v21, 0
	s_delay_alu instid0(VALU_DEP_3) | instskip(NEXT) | instid1(VALU_DEP_2)
	v_mul_lo_u32 v11, v18, v20
	v_mul_hi_u32 v19, v21, v8
	s_delay_alu instid0(VALU_DEP_2) | instskip(SKIP_1) | instid1(VALU_DEP_2)
	v_add3_u32 v18, v9, v11, v10
	v_mad_u64_u32 v[11:12], null, v20, v8, 0
	v_mad_u64_u32 v[9:10], null, v21, v18, 0
	;; [unrolled: 1-line block ×3, first 2 shown]
	v_ashrrev_i32_e32 v18, 31, v29
	s_delay_alu instid0(VALU_DEP_3) | instskip(NEXT) | instid1(VALU_DEP_4)
	v_add_co_u32 v8, vcc_lo, v19, v9
	v_add_co_ci_u32_e32 v9, vcc_lo, 0, v10, vcc_lo
	s_delay_alu instid0(VALU_DEP_2) | instskip(NEXT) | instid1(VALU_DEP_2)
	v_add_co_u32 v8, vcc_lo, v8, v11
	v_add_co_ci_u32_e32 v8, vcc_lo, v9, v12, vcc_lo
	v_add_co_ci_u32_e32 v9, vcc_lo, 0, v14, vcc_lo
	v_add_co_u32 v10, vcc_lo, v28, v18
	v_add_co_ci_u32_e32 v11, vcc_lo, v29, v18, vcc_lo
	s_delay_alu instid0(VALU_DEP_4) | instskip(NEXT) | instid1(VALU_DEP_4)
	v_add_co_u32 v8, vcc_lo, v8, v13
	v_add_co_ci_u32_e32 v9, vcc_lo, 0, v9, vcc_lo
	s_delay_alu instid0(VALU_DEP_4) | instskip(NEXT) | instid1(VALU_DEP_3)
	v_xor_b32_e32 v14, v10, v18
	v_add_co_u32 v12, vcc_lo, v21, v8
	s_delay_alu instid0(VALU_DEP_3) | instskip(SKIP_1) | instid1(VALU_DEP_3)
	v_add_co_ci_u32_e32 v19, vcc_lo, v20, v9, vcc_lo
	v_xor_b32_e32 v20, v11, v18
	v_mul_hi_u32 v21, v14, v12
	s_delay_alu instid0(VALU_DEP_3) | instskip(NEXT) | instid1(VALU_DEP_3)
	v_mad_u64_u32 v[8:9], null, v14, v19, 0
	v_mad_u64_u32 v[10:11], null, v20, v12, 0
	;; [unrolled: 1-line block ×3, first 2 shown]
	s_delay_alu instid0(VALU_DEP_3) | instskip(NEXT) | instid1(VALU_DEP_4)
	v_add_co_u32 v8, vcc_lo, v21, v8
	v_add_co_ci_u32_e32 v9, vcc_lo, 0, v9, vcc_lo
	s_delay_alu instid0(VALU_DEP_2) | instskip(NEXT) | instid1(VALU_DEP_2)
	v_add_co_u32 v8, vcc_lo, v8, v10
	v_add_co_ci_u32_e32 v8, vcc_lo, v9, v11, vcc_lo
	v_add_co_ci_u32_e32 v9, vcc_lo, 0, v13, vcc_lo
	s_delay_alu instid0(VALU_DEP_2) | instskip(NEXT) | instid1(VALU_DEP_2)
	v_add_co_u32 v10, vcc_lo, v8, v12
	v_add_co_ci_u32_e32 v11, vcc_lo, 0, v9, vcc_lo
	s_delay_alu instid0(VALU_DEP_2) | instskip(SKIP_1) | instid1(VALU_DEP_3)
	v_mul_lo_u32 v12, v5, v10
	v_mad_u64_u32 v[8:9], null, v17, v10, 0
	v_mul_lo_u32 v13, v17, v11
	s_delay_alu instid0(VALU_DEP_2) | instskip(NEXT) | instid1(VALU_DEP_2)
	v_sub_co_u32 v8, vcc_lo, v14, v8
	v_add3_u32 v9, v9, v13, v12
	s_delay_alu instid0(VALU_DEP_1) | instskip(NEXT) | instid1(VALU_DEP_1)
	v_sub_nc_u32_e32 v12, v20, v9
	v_sub_co_ci_u32_e64 v12, s0, v12, v5, vcc_lo
	v_add_co_u32 v13, s0, v10, 2
	s_delay_alu instid0(VALU_DEP_1) | instskip(SKIP_3) | instid1(VALU_DEP_3)
	v_add_co_ci_u32_e64 v14, s0, 0, v11, s0
	v_sub_co_u32 v19, s0, v8, v17
	v_sub_co_ci_u32_e32 v9, vcc_lo, v20, v9, vcc_lo
	v_subrev_co_ci_u32_e64 v12, s0, 0, v12, s0
	v_cmp_ge_u32_e32 vcc_lo, v19, v17
	s_delay_alu instid0(VALU_DEP_3) | instskip(SKIP_1) | instid1(VALU_DEP_4)
	v_cmp_eq_u32_e64 s0, v9, v5
	v_cndmask_b32_e64 v19, 0, -1, vcc_lo
	v_cmp_ge_u32_e32 vcc_lo, v12, v5
	v_cndmask_b32_e64 v20, 0, -1, vcc_lo
	v_cmp_ge_u32_e32 vcc_lo, v8, v17
	;; [unrolled: 2-line block ×3, first 2 shown]
	v_cndmask_b32_e64 v17, 0, -1, vcc_lo
	v_cmp_eq_u32_e32 vcc_lo, v12, v5
	s_delay_alu instid0(VALU_DEP_2) | instskip(SKIP_3) | instid1(VALU_DEP_3)
	v_cndmask_b32_e64 v5, v17, v8, s0
	v_cndmask_b32_e32 v12, v20, v19, vcc_lo
	v_add_co_u32 v19, vcc_lo, v10, 1
	v_add_co_ci_u32_e32 v20, vcc_lo, 0, v11, vcc_lo
	v_cmp_ne_u32_e32 vcc_lo, 0, v12
	s_delay_alu instid0(VALU_DEP_2) | instskip(SKIP_2) | instid1(VALU_DEP_3)
	v_dual_cndmask_b32 v8, v20, v14 :: v_dual_cndmask_b32 v9, v19, v13
	v_cmp_ne_u32_e32 vcc_lo, 0, v5
	v_xor_b32_e32 v5, v18, v15
	v_dual_cndmask_b32 v9, v10, v9 :: v_dual_cndmask_b32 v8, v11, v8
	v_xor_b32_e32 v10, v18, v16
	s_delay_alu instid0(VALU_DEP_2) | instskip(NEXT) | instid1(VALU_DEP_2)
	v_xor_b32_e32 v9, v9, v5
	v_xor_b32_e32 v8, v8, v10
	s_delay_alu instid0(VALU_DEP_2) | instskip(NEXT) | instid1(VALU_DEP_2)
	v_sub_co_u32 v48, vcc_lo, v9, v5
	v_sub_co_ci_u32_e32 v49, vcc_lo, v8, v10, vcc_lo
.LBB4_15:
	s_and_not1_saveexec_b32 s0, s1
	s_cbranch_execz .LBB4_17
; %bb.16:
	v_cvt_f32_u32_e32 v5, v36
	v_sub_nc_u32_e32 v8, 0, v36
	v_mov_b32_e32 v49, 0
	s_delay_alu instid0(VALU_DEP_3) | instskip(SKIP_2) | instid1(VALU_DEP_1)
	v_rcp_iflag_f32_e32 v5, v5
	s_waitcnt_depctr 0xfff
	v_mul_f32_e32 v5, 0x4f7ffffe, v5
	v_cvt_u32_f32_e32 v5, v5
	s_delay_alu instid0(VALU_DEP_1) | instskip(NEXT) | instid1(VALU_DEP_1)
	v_mul_lo_u32 v8, v8, v5
	v_mul_hi_u32 v8, v5, v8
	s_delay_alu instid0(VALU_DEP_1) | instskip(NEXT) | instid1(VALU_DEP_1)
	v_add_nc_u32_e32 v5, v5, v8
	v_mul_hi_u32 v5, v28, v5
	s_delay_alu instid0(VALU_DEP_1) | instskip(SKIP_1) | instid1(VALU_DEP_2)
	v_mul_lo_u32 v8, v5, v36
	v_add_nc_u32_e32 v9, 1, v5
	v_sub_nc_u32_e32 v8, v28, v8
	s_delay_alu instid0(VALU_DEP_1) | instskip(SKIP_1) | instid1(VALU_DEP_2)
	v_sub_nc_u32_e32 v10, v8, v36
	v_cmp_ge_u32_e32 vcc_lo, v8, v36
	v_dual_cndmask_b32 v8, v8, v10 :: v_dual_cndmask_b32 v5, v5, v9
	s_delay_alu instid0(VALU_DEP_1) | instskip(NEXT) | instid1(VALU_DEP_2)
	v_cmp_ge_u32_e32 vcc_lo, v8, v36
	v_add_nc_u32_e32 v9, 1, v5
	s_delay_alu instid0(VALU_DEP_1)
	v_cndmask_b32_e32 v48, v5, v9, vcc_lo
.LBB4_17:
	s_or_b32 exec_lo, exec_lo, s0
	v_mul_lo_u32 v5, v6, v4
	s_delay_alu instid0(VALU_DEP_1) | instskip(NEXT) | instid1(VALU_DEP_1)
	v_sub_nc_u32_e32 v5, v35, v5
	v_sub_nc_u32_e32 v8, v5, v4
	v_cmp_ge_u32_e64 s0, v5, v4
	s_delay_alu instid0(VALU_DEP_1) | instskip(NEXT) | instid1(VALU_DEP_1)
	v_cndmask_b32_e64 v5, v5, v8, s0
	v_cmp_ge_u32_e32 vcc_lo, v5, v4
	s_cbranch_execnz .LBB4_706
; %bb.18:
	ds_load_b64 v[4:5], v0
	s_mov_b32 s3, exec_lo
	s_waitcnt lgkmcnt(0)
	v_cmp_ne_u32_e64 s1, -1, v4
	s_delay_alu instid0(VALU_DEP_1) | instskip(SKIP_1) | instid1(VALU_DEP_1)
	v_cndmask_b32_e64 v52, 0, 1, s1
	v_cmp_ne_u32_e64 s1, -1, v5
	v_add_co_ci_u32_e64 v4, s2, 0, v52, s1
	s_delay_alu instid0(VALU_DEP_1) | instskip(NEXT) | instid1(VALU_DEP_1)
	v_lshlrev_b32_e32 v5, 1, v4
	v_cmpx_le_i32_e64 v5, v1
	s_xor_b32 s16, exec_lo, s3
	s_cbranch_execz .LBB4_854
; %bb.19:
	flat_load_b128 v[8:11], v[2:3] offset:16
	s_cbranch_execnz .LBB4_708
; %bb.20:
	s_load_b32 s2, s[8:9], 0x0
	v_dual_mov_b32 v5, 0 :: v_dual_mov_b32 v86, 4
	s_waitcnt lgkmcnt(0)
	s_cmp_lt_u32 s12, s2
	s_cselect_b32 s2, 12, 18
	s_delay_alu instid0(SALU_CYCLE_1)
	s_add_u32 s2, s8, s2
	s_addc_u32 s3, s9, 0
	global_load_u16 v37, v5, s[2:3]
	ds_load_b32 v5, v0
	s_mov_b32 s3, exec_lo
	s_waitcnt lgkmcnt(0)
	v_readfirstlane_b32 s5, v5
	v_cmpx_ge_i32_e64 v0, v52
	s_cbranch_execz .LBB4_30
; %bb.21:
	v_cmp_le_u32_e64 s2, v4, v0
                                        ; implicit-def: $vgpr86
	s_delay_alu instid0(VALU_DEP_1) | instskip(NEXT) | instid1(SALU_CYCLE_1)
	s_and_saveexec_b32 s4, s2
	s_xor_b32 s2, exec_lo, s4
	s_cbranch_execz .LBB4_27
; %bb.22:
	v_cndmask_b32_e64 v5, 0, 1, s1
                                        ; implicit-def: $sgpr6
	s_delay_alu instid0(VALU_DEP_1) | instskip(NEXT) | instid1(VALU_DEP_1)
	v_sub_nc_u32_e32 v5, v1, v5
	v_cmp_ge_u32_e64 s1, v0, v5
	s_delay_alu instid0(VALU_DEP_1) | instskip(NEXT) | instid1(SALU_CYCLE_1)
	s_and_saveexec_b32 s4, s1
	s_xor_b32 s1, exec_lo, s4
; %bb.23:
	s_mov_b32 s6, 16
                                        ; implicit-def: $vgpr4
; %bb.24:
	s_or_saveexec_b32 s4, s1
	v_mov_b32_e32 v86, s6
	s_xor_b32 exec_lo, exec_lo, s4
; %bb.25:
	v_sub_nc_u32_e32 v4, v1, v4
	s_delay_alu instid0(VALU_DEP_1) | instskip(NEXT) | instid1(VALU_DEP_1)
	v_cmp_ge_i32_e64 s1, v0, v4
	v_cndmask_b32_e64 v4, 0, 1, s1
	s_delay_alu instid0(VALU_DEP_1)
	v_lshlrev_b32_e32 v86, 5, v4
; %bb.26:
	s_or_b32 exec_lo, exec_lo, s4
.LBB4_27:
	s_and_not1_saveexec_b32 s1, s2
; %bb.28:
	v_mov_b32_e32 v86, 8
; %bb.29:
	s_or_b32 exec_lo, exec_lo, s1
.LBB4_30:
	s_delay_alu instid0(SALU_CYCLE_1) | instskip(NEXT) | instid1(VALU_DEP_1)
	s_or_b32 exec_lo, exec_lo, s3
	v_dual_mov_b32 v29, -1 :: v_dual_and_b32 v4, 36, v86
	s_delay_alu instid0(VALU_DEP_1) | instskip(NEXT) | instid1(VALU_DEP_1)
	v_cmp_ne_u32_e64 s1, 0, v4
	s_and_saveexec_b32 s2, s1
	s_cbranch_execz .LBB4_33
; %bb.31:
	s_cbranch_execnz .LBB4_710
; %bb.32:
	ds_load_b32 v29, v0
.LBB4_33:
	s_or_b32 exec_lo, exec_lo, s2
	v_and_b32_e32 v4, 24, v86
	s_mov_b32 s3, exec_lo
	s_delay_alu instid0(VALU_DEP_1)
	v_cmpx_ne_u32_e32 0, v4
	s_cbranch_execz .LBB4_36
; %bb.34:
	s_cbranch_execnz .LBB4_712
; %bb.35:
	s_waitcnt lgkmcnt(0)
	ds_load_b32 v29, v0
.LBB4_36:
	s_or_b32 exec_lo, exec_lo, s3
	v_mov_b32_e32 v14, 0
	v_mov_b32_e32 v15, 0
	s_delay_alu instid0(VALU_DEP_2) | instskip(NEXT) | instid1(VALU_DEP_2)
	v_mov_b32_e32 v4, v14
                                        ; implicit-def: $vgpr12_vgpr13
                                        ; implicit-def: $vgpr87
                                        ; implicit-def: $vgpr22_vgpr23
                                        ; implicit-def: $vgpr18_vgpr19
                                        ; implicit-def: $vgpr20_vgpr21
                                        ; implicit-def: $vgpr16_vgpr17
	v_mov_b32_e32 v5, v15
	s_and_saveexec_b32 s2, s1
	s_cbranch_execz .LBB4_49
; %bb.37:
	s_cbranch_execnz .LBB4_714
; %bb.38:
	ds_load_b64 v[4:5], v0
	s_waitcnt lgkmcnt(1)
	v_ashrrev_i32_e32 v30, 31, v29
	s_mov_b32 s3, exec_lo
	s_delay_alu instid0(VALU_DEP_1) | instskip(SKIP_1) | instid1(VALU_DEP_1)
	v_lshlrev_b64 v[12:13], 3, v[29:30]
	s_waitcnt lgkmcnt(0)
	v_add_co_u32 v4, s1, v4, v12
	s_delay_alu instid0(VALU_DEP_1)
	v_add_co_ci_u32_e64 v5, s1, v5, v13, s1
                                        ; implicit-def: $vgpr12_vgpr13
	flat_load_b64 v[24:25], v[4:5]
	s_waitcnt vmcnt(0) lgkmcnt(0)
	flat_load_b32 v4, v[24:25] offset:640
	s_waitcnt vmcnt(0) lgkmcnt(0)
	v_cmpx_eq_u32_e32 1, v4
	s_cbranch_execz .LBB4_41
; %bb.39:
	flat_load_b64 v[12:13], v[24:25] offset:648
	s_waitcnt vmcnt(0) lgkmcnt(0)
	flat_load_b64 v[4:5], v[12:13]
	s_cbranch_execnz .LBB4_727
; %bb.40:
	s_waitcnt vmcnt(0) lgkmcnt(0)
	ds_store_b64 v0, v[4:5]
	flat_load_b64 v[4:5], v[12:13] offset:8
	v_or_b32_e32 v86, 0x2000, v86
	s_waitcnt vmcnt(0) lgkmcnt(0)
	ds_store_b64 v0, v[4:5]
	flat_load_b64 v[4:5], v[12:13] offset:16
	s_waitcnt vmcnt(0) lgkmcnt(0)
	ds_store_b64 v0, v[4:5]
.LBB4_41:
	s_or_b32 exec_lo, exec_lo, s3
	flat_load_b64 v[4:5], v[24:25] offset:608
	v_and_b32_e32 v14, 32, v86
	s_mov_b32 s3, exec_lo
                                        ; implicit-def: $vgpr16_vgpr17
	s_waitcnt vmcnt(0) lgkmcnt(0)
	v_add_co_u32 v4, s1, v4, 3
	s_delay_alu instid0(VALU_DEP_1) | instskip(NEXT) | instid1(VALU_DEP_2)
	v_add_co_ci_u32_e64 v19, s1, 0, v5, s1
	v_and_b32_e32 v18, -4, v4
	v_cmpx_ne_u32_e32 0, v14
	s_cbranch_execz .LBB4_43
; %bb.42:
	flat_load_b64 v[16:17], v[24:25] offset:560
	s_waitcnt vmcnt(0) lgkmcnt(0)
	s_waitcnt_vscnt null, 0x0
	flat_store_b64 v[16:17], v[18:19]
.LBB4_43:
	s_or_b32 exec_lo, exec_lo, s3
	v_and_b32_e32 v20, 4, v86
	v_add_co_u32 v14, s1, 0x1f8, v24
	s_delay_alu instid0(VALU_DEP_1) | instskip(SKIP_3) | instid1(VALU_DEP_1)
	v_add_co_ci_u32_e64 v15, s1, 0, v25, s1
	v_mov_b32_e32 v4, 0
	v_mov_b32_e32 v5, 0
	v_cmp_ne_u32_e64 s1, 0, v20
                                        ; implicit-def: $vgpr87
                                        ; implicit-def: $vgpr22_vgpr23
                                        ; implicit-def: $vgpr20_vgpr21
	s_and_saveexec_b32 s3, s1
	s_cbranch_execz .LBB4_48
; %bb.44:
	v_and_b32_e32 v4, 0x800, v86
	s_mov_b32 s4, exec_lo
	s_delay_alu instid0(VALU_DEP_1)
	v_cmpx_eq_u32_e32 0, v4
	s_cbranch_execz .LBB4_47
; %bb.45:
	s_cbranch_execnz .LBB4_729
; %bb.46:
	ds_store_b64 v0, v[14:15]
.LBB4_47:
	s_or_b32 exec_lo, exec_lo, s4
	flat_load_b64 v[16:17], v[24:25] offset:552
	s_waitcnt vmcnt(0) lgkmcnt(0)
	flat_load_b64 v[22:23], v[16:17] glc
	s_clause 0x2
	flat_load_b64 v[4:5], v[24:25] offset:600
	flat_load_b32 v87, v[24:25] offset:576
	flat_load_b64 v[20:21], v[24:25] offset:520
	v_or_b32_e32 v24, 0x100, v86
	s_waitcnt vmcnt(2) lgkmcnt(2)
	v_cmp_eq_u64_e64 s1, 0, v[4:5]
	s_delay_alu instid0(VALU_DEP_1)
	v_cndmask_b32_e64 v86, v24, v86, s1
.LBB4_48:
	s_or_b32 exec_lo, exec_lo, s3
.LBB4_49:
	s_delay_alu instid0(SALU_CYCLE_1) | instskip(SKIP_3) | instid1(VALU_DEP_3)
	s_or_b32 exec_lo, exec_lo, s2
	v_add_nc_u32_e32 v24, 1, v6
	v_cvt_f32_u32_e32 v25, v34
	v_ashrrev_i32_e32 v38, 31, v26
	v_cndmask_b32_e64 v6, v6, v24, s0
	s_delay_alu instid0(VALU_DEP_3) | instskip(SKIP_2) | instid1(VALU_DEP_2)
	v_rcp_iflag_f32_e32 v24, v25
	v_bfe_i32 v25, v34, 30, 1
	s_mov_b32 s0, exec_lo
	v_add_nc_u32_e32 v30, 1, v6
	s_delay_alu instid0(VALU_DEP_2) | instskip(NEXT) | instid1(VALU_DEP_2)
	v_xor_b32_e32 v25, v38, v25
	v_cndmask_b32_e32 v6, v6, v30, vcc_lo
	s_waitcnt_depctr 0xfff
	v_mul_f32_e32 v24, 0x4f7ffffe, v24
	v_sub_nc_u32_e32 v30, 0, v34
	v_xor_b32_e32 v6, v6, v25
	s_delay_alu instid0(VALU_DEP_3) | instskip(NEXT) | instid1(VALU_DEP_2)
	v_cvt_u32_f32_e32 v24, v24
	v_sub_nc_u32_e32 v53, v6, v25
	s_delay_alu instid0(VALU_DEP_2) | instskip(NEXT) | instid1(VALU_DEP_2)
	v_mul_lo_u32 v6, v30, v24
	v_mul_lo_u32 v7, v53, v7
	s_delay_alu instid0(VALU_DEP_2) | instskip(NEXT) | instid1(VALU_DEP_2)
	v_mul_hi_u32 v6, v24, v6
	v_sub_nc_u32_e32 v7, v26, v7
	s_delay_alu instid0(VALU_DEP_2) | instskip(NEXT) | instid1(VALU_DEP_2)
	v_add_nc_u32_e32 v6, v24, v6
	v_sub_nc_u32_e32 v25, 0, v7
	s_delay_alu instid0(VALU_DEP_2) | instskip(NEXT) | instid1(VALU_DEP_2)
	v_mad_u64_u32 v[32:33], null, v35, v6, 0
	v_max_i32_e32 v54, v7, v25
	v_ashrrev_i32_e32 v32, 31, v7
	s_delay_alu instid0(VALU_DEP_2) | instskip(SKIP_1) | instid1(VALU_DEP_1)
	v_mad_u64_u32 v[25:26], null, v54, v6, 0
	v_and_b32_e32 v6, 24, v86
                                        ; implicit-def: $vgpr24_vgpr25
	v_cmpx_ne_u32_e32 0, v6
	s_cbranch_execz .LBB4_59
; %bb.50:
	s_cbranch_execnz .LBB4_721
; %bb.51:
	ds_load_b64 v[4:5], v0
	s_waitcnt lgkmcnt(1)
	v_ashrrev_i32_e32 v30, 31, v29
	v_or_b32_e32 v18, 0x100, v86
	s_mov_b32 s1, exec_lo
                                        ; implicit-def: $vgpr24_vgpr25
	s_delay_alu instid0(VALU_DEP_2) | instskip(SKIP_1) | instid1(VALU_DEP_1)
	v_lshlrev_b64 v[6:7], 3, v[29:30]
	s_waitcnt lgkmcnt(0)
	v_add_co_u32 v4, vcc_lo, v4, v6
	s_delay_alu instid0(VALU_DEP_2)
	v_add_co_ci_u32_e32 v5, vcc_lo, v5, v7, vcc_lo
	flat_load_b64 v[14:15], v[4:5]
	s_waitcnt vmcnt(0) lgkmcnt(0)
	flat_load_b128 v[4:7], v[14:15] offset:96
	s_waitcnt vmcnt(0) lgkmcnt(0)
	v_cmp_eq_u64_e32 vcc_lo, 0, v[4:5]
	v_cndmask_b32_e32 v86, v18, v86, vcc_lo
	s_delay_alu instid0(VALU_DEP_1) | instskip(NEXT) | instid1(VALU_DEP_1)
	v_and_b32_e32 v18, 16, v86
	v_cmpx_ne_u32_e32 0, v18
; %bb.52:
	s_clause 0x2
	flat_load_b64 v[24:25], v[14:15] offset:120
	flat_load_b64 v[16:17], v[14:15] offset:48
	;; [unrolled: 1-line block ×3, first 2 shown]
; %bb.53:
	s_or_b32 exec_lo, exec_lo, s1
	v_and_b32_e32 v18, 8, v86
	s_mov_b32 s1, exec_lo
	s_delay_alu instid0(VALU_DEP_1)
	v_cmpx_ne_u32_e32 0, v18
	s_cbranch_execz .LBB4_58
; %bb.54:
	s_waitcnt vmcnt(1) lgkmcnt(1)
	v_and_b32_e32 v16, 0x800, v86
	s_mov_b32 s2, exec_lo
	s_delay_alu instid0(VALU_DEP_1)
	v_cmpx_eq_u32_e32 0, v16
	s_cbranch_execz .LBB4_57
; %bb.55:
	s_cbranch_execnz .LBB4_731
; %bb.56:
	ds_store_b64 v0, v[14:15]
.LBB4_57:
	s_or_b32 exec_lo, exec_lo, s2
	flat_load_b64 v[16:17], v[14:15] offset:56
	s_waitcnt vmcnt(0) lgkmcnt(0)
	flat_load_b64 v[22:23], v[16:17] glc
	s_clause 0x1
	flat_load_b32 v87, v[14:15] offset:72
	flat_load_b64 v[20:21], v[14:15] offset:16
.LBB4_58:
	s_or_b32 exec_lo, exec_lo, s1
	v_add_co_u32 v6, vcc_lo, v6, 3
	v_add_co_ci_u32_e32 v19, vcc_lo, 0, v7, vcc_lo
	s_delay_alu instid0(VALU_DEP_2)
	v_and_b32_e32 v18, -4, v6
.LBB4_59:
	s_or_b32 exec_lo, exec_lo, s0
	v_cmp_eq_u32_e64 s0, 0, v0
	s_delay_alu instid0(VALU_DEP_1)
	s_and_saveexec_b32 s1, s0
	s_cbranch_execz .LBB4_62
; %bb.60:
	s_waitcnt vmcnt(1)
	v_dual_mov_b32 v6, v10 :: v_dual_mov_b32 v7, v11
	ds_store_2addr_b64 v0, v[6:7], v[8:9] offset1:1
	s_cbranch_execnz .LBB4_723
; %bb.61:
	v_mov_b32_e32 v6, 0
	s_delay_alu instid0(VALU_DEP_1)
	v_mov_b32_e32 v7, v6
	ds_store_b64 v0, v[6:7]
.LBB4_62:
	s_or_b32 exec_lo, exec_lo, s1
	s_waitcnt vmcnt(1)
	v_mov_b32_e32 v10, 0
	s_waitcnt vmcnt(0)
	v_dual_mov_b32 v11, 0 :: v_dual_and_b32 v30, 0xffff, v37
	s_cmp_lt_i32 s13, -1
	s_cbranch_scc1 .LBB4_716
; %bb.63:
	v_mul_lo_u32 v6, v33, v34
	v_mul_lo_u32 v7, v26, v34
	v_ashrrev_i32_e32 v9, 31, v0
	s_mov_b32 s15, 0
	s_delay_alu instid0(VALU_DEP_1) | instskip(NEXT) | instid1(VALU_DEP_4)
	v_lshrrev_b32_e32 v9, 27, v9
	v_sub_nc_u32_e32 v6, v35, v6
	s_delay_alu instid0(VALU_DEP_4) | instskip(SKIP_1) | instid1(VALU_DEP_4)
	v_sub_nc_u32_e32 v7, v54, v7
	v_mad_u64_u32 v[54:55], null, v48, v36, 0
	v_add_nc_u32_e32 v9, v0, v9
	s_delay_alu instid0(VALU_DEP_4) | instskip(SKIP_2) | instid1(VALU_DEP_3)
	v_sub_nc_u32_e32 v8, v6, v34
	v_cmp_ge_u32_e32 vcc_lo, v6, v34
	v_sub_nc_u32_e32 v10, v7, v34
	v_cndmask_b32_e32 v6, v6, v8, vcc_lo
	v_cmp_ge_u32_e32 vcc_lo, v7, v34
	v_add_nc_u32_e32 v8, 1, v26
	s_delay_alu instid0(VALU_DEP_4) | instskip(NEXT) | instid1(VALU_DEP_4)
	v_cndmask_b32_e32 v7, v7, v10, vcc_lo
	v_sub_nc_u32_e32 v11, v6, v34
	v_cmp_ge_u32_e64 s1, v6, v34
	s_delay_alu instid0(VALU_DEP_4) | instskip(SKIP_2) | instid1(VALU_DEP_4)
	v_cndmask_b32_e32 v8, v26, v8, vcc_lo
	v_mov_b32_e32 v26, 0
	v_cmp_ge_u32_e32 vcc_lo, v7, v34
	v_cndmask_b32_e64 v6, v6, v11, s1
	s_delay_alu instid0(VALU_DEP_4) | instskip(NEXT) | instid1(VALU_DEP_2)
	v_add_nc_u32_e32 v10, 1, v8
	v_xor_b32_e32 v6, v6, v38
	s_delay_alu instid0(VALU_DEP_2) | instskip(SKIP_1) | instid1(VALU_DEP_3)
	v_dual_cndmask_b32 v7, v8, v10 :: v_dual_and_b32 v10, 0xffffffe0, v9
	v_cmp_ge_i32_e32 vcc_lo, v0, v1
	v_sub_nc_u32_e32 v8, v6, v38
	s_delay_alu instid0(VALU_DEP_3) | instskip(NEXT) | instid1(VALU_DEP_4)
	v_xor_b32_e32 v11, v7, v32
	v_sub_nc_u32_e32 v96, v0, v10
	s_delay_alu instid0(VALU_DEP_3) | instskip(NEXT) | instid1(VALU_DEP_3)
	v_mad_u64_u32 v[6:7], null, v53, v34, v[8:9]
	v_sub_nc_u32_e32 v10, v11, v32
	v_sub_co_u32 v8, null, v28, v54
	v_and_b32_e32 v7, 31, v31
	v_cmp_gt_i32_e64 s1, 1, v96
	s_delay_alu instid0(VALU_DEP_4) | instskip(NEXT) | instid1(VALU_DEP_4)
	v_cmp_eq_u32_e64 s11, 0, v10
	v_cmp_lt_i32_e64 s3, v6, v8
	s_delay_alu instid0(VALU_DEP_4)
	v_cmp_eq_u32_e64 s2, 0, v7
	s_cbranch_execnz .LBB4_725
; %bb.64:
	s_delay_alu instid0(VALU_DEP_2)
	v_cndmask_b32_e64 v7, 0, 1, s3
	v_min_i32_e32 v32, v6, v8
	v_ashrrev_i32_e32 v35, 31, v10
	s_abs_i32 s18, s13
	v_lshrrev_b32_e32 v98, 5, v1
	v_add_co_u32 v7, s3, v48, v7
	s_delay_alu instid0(VALU_DEP_1) | instskip(SKIP_1) | instid1(VALU_DEP_3)
	v_add_co_ci_u32_e64 v11, s3, 0, v49, s3
	v_ashrrev_i32_e32 v33, 31, v32
	v_mul_lo_u32 v34, v7, v51
	s_waitcnt lgkmcnt(0)
	v_mad_u64_u32 v[28:29], null, v7, v50, 0
	v_mul_lo_u32 v11, v11, v50
	v_ashrrev_i32_e32 v7, 31, v6
	v_mul_lo_u32 v49, v49, v6
	v_mad_u64_u32 v[36:37], null, v48, v6, v[32:33]
	v_dual_mov_b32 v33, v26 :: v_dual_and_b32 v32, 0x3ffffe00, v27
	s_delay_alu instid0(VALU_DEP_4) | instskip(SKIP_4) | instid1(VALU_DEP_3)
	v_mul_lo_u32 v55, v48, v7
	v_add3_u32 v29, v29, v34, v11
	v_mul_lo_u32 v11, v28, v35
	v_mad_u64_u32 v[53:54], null, v28, v10, 0
	s_lshr_b32 s3, s13, 31
	v_mul_lo_u32 v10, v29, v10
	v_mad_u64_u32 v[34:35], null, v36, v50, 0
	v_add3_u32 v27, v49, v37, v55
	v_mul_lo_u32 v37, v36, v51
	s_add_i32 s4, s13, s3
	v_cvt_f32_u32_e32 v66, s18
	v_lshlrev_b32_e32 v100, 9, v98
	v_add3_u32 v38, v54, v11, v10
	v_lshrrev_b32_e32 v10, 31, v29
	v_mul_lo_u32 v27, v27, v50
	v_rcp_iflag_f32_e32 v66, v66
	s_ashr_i32 s17, s4, 1
	v_lshrrev_b32_e32 v36, 31, v38
	v_add_co_u32 v10, s3, v28, v10
	s_delay_alu instid0(VALU_DEP_1) | instskip(NEXT) | instid1(VALU_DEP_4)
	v_add_co_ci_u32_e64 v11, s3, 0, v29, s3
	v_add3_u32 v97, v35, v37, v27
	v_lshl_add_u32 v27, v98, 11, 0xfffff800
	v_ashrrev_i32_e32 v35, 5, v9
	s_delay_alu instid0(VALU_DEP_4) | instskip(SKIP_2) | instid1(VALU_DEP_1)
	v_ashrrev_i64 v[10:11], 1, v[10:11]
	v_lshlrev_b32_e32 v9, 4, v96
	v_add_co_u32 v36, s3, v53, v36
	v_add_co_ci_u32_e64 v37, s3, 0, v38, s3
	s_delay_alu instid0(VALU_DEP_4)
	v_sub_co_u32 v64, s3, v28, v10
	v_ashrrev_i32_e32 v53, 31, v27
	v_lshl_add_u32 v99, v35, 11, v9
	v_ashrrev_i32_e32 v9, 31, v8
	v_sub_co_ci_u32_e64 v65, s3, v29, v11, s3
	v_add_co_u32 v102, s3, 0x800, v27
	s_delay_alu instid0(VALU_DEP_1) | instskip(NEXT) | instid1(VALU_DEP_4)
	v_add_co_ci_u32_e64 v103, s3, 0, v53, s3
	v_cmp_lt_i64_e64 s3, v[6:7], v[8:9]
	s_delay_alu instid0(VALU_DEP_4)
	v_cndmask_b32_e64 v117, v65, v11, s11
	v_cndmask_b32_e64 v118, v64, v10, s11
	v_mov_b32_e32 v10, 0
	v_dual_mov_b32 v11, 0 :: v_dual_add_nc_u32 v54, 0xfffffe00, v100
	v_mov_b32_e32 v119, 1
	v_cndmask_b32_e64 v9, v9, v7, s3
	v_cndmask_b32_e64 v8, v8, v6, s3
	v_and_b32_e32 v114, 0xffffffe0, v1
	v_ashrrev_i32_e32 v27, 31, v54
	v_add_co_u32 v112, s4, 0x200, v54
	s_delay_alu instid0(VALU_DEP_4) | instskip(SKIP_1) | instid1(VALU_DEP_4)
	v_mad_u64_u32 v[53:54], null, v48, v6, v[8:9]
	v_mul_f32_e32 v6, 0x4f7ffffe, v66
	v_add_co_ci_u32_e64 v113, s4, 0, v27, s4
	s_ashr_i32 s4, s5, 31
	s_sub_i32 s14, 0, s18
	s_delay_alu instid0(VALU_DEP_2) | instskip(NEXT) | instid1(VALU_DEP_4)
	v_cvt_u32_f32_e32 v6, v6
	v_add3_u32 v7, v49, v54, v55
	v_mad_u64_u32 v[48:49], null, v53, v50, 0
	s_lshr_b32 s3, s4, 25
	s_delay_alu instid0(VALU_DEP_3)
	v_readfirstlane_b32 s12, v6
	v_mul_lo_u32 v6, v53, v51
	v_mul_lo_u32 v7, v7, v50
	s_add_i32 s5, s5, s3
	v_ashrrev_i64 v[37:38], 1, v[36:37]
	v_cmp_eq_u64_e64 s7, 0, v[24:25]
	v_cmp_ne_u64_e64 s10, 0, v[24:25]
	s_mul_i32 s14, s14, s12
	v_ashrrev_i32_e32 v36, 31, v35
	v_ashrrev_i32_e32 v101, 31, v99
	;; [unrolled: 1-line block ×3, first 2 shown]
	s_ashr_i32 s19, s5, 7
	v_ashrrev_i32_e32 v116, 31, v87
	v_cmp_eq_u32_e64 s3, 32, v1
	v_cmp_ne_u32_e64 s4, 32, v1
	v_cmp_ne_u32_e64 s5, v30, v1
	v_cmp_lt_i32_e64 s6, v96, v52
	v_add3_u32 v49, v49, v6, v7
	s_mul_hi_u32 s11, s12, s14
	s_xor_b32 s21, vcc_lo, -1
	s_add_i32 s20, s12, s11
	s_mov_b32 s14, s15
	s_cbranch_execnz .LBB4_702
.LBB4_65:                               ; =>This Loop Header: Depth=1
                                        ;     Child Loop BB4_73 Depth 2
                                        ;     Child Loop BB4_80 Depth 2
	;; [unrolled: 1-line block ×5, first 2 shown]
                                        ;       Child Loop BB4_103 Depth 3
                                        ;         Child Loop BB4_112 Depth 4
                                        ;         Child Loop BB4_139 Depth 4
	;; [unrolled: 1-line block ×8, first 2 shown]
                                        ;       Child Loop BB4_242 Depth 3
                                        ;         Child Loop BB4_248 Depth 4
                                        ;         Child Loop BB4_275 Depth 4
                                        ;       Child Loop BB4_299 Depth 3
                                        ;         Child Loop BB4_301 Depth 4
                                        ;           Child Loop BB4_309 Depth 5
                                        ;           Child Loop BB4_341 Depth 5
	;; [unrolled: 1-line block ×8, first 2 shown]
                                        ;         Child Loop BB4_444 Depth 4
                                        ;           Child Loop BB4_450 Depth 5
                                        ;           Child Loop BB4_482 Depth 5
                                        ;       Child Loop BB4_507 Depth 3
                                        ;         Child Loop BB4_516 Depth 4
                                        ;         Child Loop BB4_543 Depth 4
                                        ;         Child Loop BB4_566 Depth 4
                                        ;         Child Loop BB4_589 Depth 4
                                        ;         Child Loop BB4_595 Depth 4
                                        ;         Child Loop BB4_605 Depth 4
                                        ;         Child Loop BB4_611 Depth 4
                                        ;         Child Loop BB4_623 Depth 4
                                        ;       Child Loop BB4_644 Depth 3
                                        ;         Child Loop BB4_650 Depth 4
                                        ;         Child Loop BB4_677 Depth 4
	s_sub_i32 s11, s13, s14
	ds_load_b64 v[6:7], v0
	s_abs_i32 s12, s11
	s_ashr_i32 s11, s11, 31
	s_mul_hi_u32 s22, s12, s20
	s_delay_alu instid0(SALU_CYCLE_1) | instskip(NEXT) | instid1(SALU_CYCLE_1)
	s_mul_i32 s22, s22, s18
	s_sub_i32 s12, s12, s22
	s_delay_alu instid0(SALU_CYCLE_1) | instskip(SKIP_2) | instid1(SALU_CYCLE_1)
	s_sub_i32 s22, s12, s18
	s_cmp_ge_u32 s12, s18
	s_cselect_b32 s12, s22, s12
	s_sub_i32 s22, s12, s18
	s_cmp_ge_u32 s12, s18
	s_cselect_b32 s12, s22, s12
	s_lshl_b64 s[24:25], s[14:15], 2
	s_xor_b32 s12, s12, s11
	s_waitcnt lgkmcnt(0)
	v_add_co_u32 v8, vcc_lo, v6, s24
	s_sub_i32 s22, s12, s11
	v_add_co_ci_u32_e32 v9, vcc_lo, s25, v7, vcc_lo
	s_ashr_i32 s23, s22, 31
	s_delay_alu instid0(SALU_CYCLE_1)
	s_lshl_b64 s[22:23], s[22:23], 2
	s_cmp_lg_u32 s14, 0
	v_add_co_u32 v6, vcc_lo, v6, s22
	v_add_co_ci_u32_e32 v7, vcc_lo, s23, v7, vcc_lo
	s_clause 0x1
	flat_load_b32 v8, v[8:9]
	flat_load_b32 v6, v[6:7]
	s_cselect_b32 s11, -1, 0
	s_waitcnt vmcnt(1) lgkmcnt(1)
	v_ashrrev_i32_e32 v7, 31, v8
	s_waitcnt vmcnt(0) lgkmcnt(0)
	v_ashrrev_i32_e32 v27, 31, v6
	v_mul_lo_u32 v9, v85, v8
	v_mad_u64_u32 v[54:55], null, v39, v8, 0
	v_mul_lo_u32 v7, v39, v7
	v_mul_lo_u32 v64, v85, v6
	v_mad_u64_u32 v[52:53], null, v39, v6, 0
	v_cmp_eq_u32_e32 vcc_lo, v6, v8
	v_mul_lo_u32 v6, v39, v27
	v_add3_u32 v55, v55, v7, v9
	v_dual_cndmask_b32 v27, 0, v38 :: v_dual_cndmask_b32 v132, 0, v37
	v_dual_cndmask_b32 v51, v29, v117 :: v_dual_cndmask_b32 v50, v28, v118
	s_delay_alu instid0(VALU_DEP_4) | instskip(SKIP_3) | instid1(VALU_DEP_4)
	v_add3_u32 v53, v53, v6, v64
	v_add_co_u32 v6, vcc_lo, v54, v34
	v_add_co_ci_u32_e32 v7, vcc_lo, v55, v97, vcc_lo
	v_add_co_u32 v8, vcc_lo, v52, v34
	v_add_co_ci_u32_e32 v9, vcc_lo, v53, v97, vcc_lo
	s_delay_alu instid0(VALU_DEP_4) | instskip(NEXT) | instid1(VALU_DEP_4)
	v_add_co_u32 v128, vcc_lo, v6, v132
	v_add_co_ci_u32_e32 v129, vcc_lo, v7, v27, vcc_lo
	s_delay_alu instid0(VALU_DEP_4) | instskip(NEXT) | instid1(VALU_DEP_4)
	v_add_co_u32 v130, vcc_lo, v8, v132
	v_add_co_ci_u32_e32 v131, vcc_lo, v9, v27, vcc_lo
	s_and_b32 vcc_lo, exec_lo, s11
	s_cbranch_vccnz .LBB4_98
; %bb.66:                               ;   in Loop: Header=BB4_65 Depth=1
	flat_load_b128 v[6:9], v[2:3] offset:16
	s_mov_b32 s11, -1
	s_mov_b32 s12, exec_lo
	s_waitcnt vmcnt(0) lgkmcnt(0)
	v_cmpx_ne_u64_e64 v[8:9], v[6:7]
	s_cbranch_execz .LBB4_97
; %bb.67:                               ;   in Loop: Header=BB4_65 Depth=1
	s_mov_b32 s23, -1
	s_and_saveexec_b32 s22, s1
; %bb.68:                               ;   in Loop: Header=BB4_65 Depth=1
	v_add_nc_u32_e32 v64, v8, v128
	v_add_nc_u32_e32 v65, v6, v130
	s_delay_alu instid0(VALU_DEP_1) | instskip(NEXT) | instid1(VALU_DEP_1)
	v_or_b32_e32 v64, v64, v65
	v_and_b32_e32 v64, 15, v64
	s_delay_alu instid0(VALU_DEP_1)
	v_cmp_eq_u32_e32 vcc_lo, 0, v64
	s_or_not1_b32 s23, vcc_lo, exec_lo
; %bb.69:                               ;   in Loop: Header=BB4_65 Depth=1
	s_or_b32 exec_lo, exec_lo, s22
	s_xor_b32 s22, s23, -1
	s_delay_alu instid0(SALU_CYCLE_1) | instskip(SKIP_1) | instid1(VALU_DEP_1)
	v_cndmask_b32_e64 v64, 0, 1, s22
	;;#ASMSTART
	;;#ASMEND
	v_cmp_ne_u32_e32 vcc_lo, 0, v64
	s_cbranch_vccz .LBB4_71
; %bb.70:                               ;   in Loop: Header=BB4_65 Depth=1
	v_dual_mov_b32 v66, 0 :: v_dual_mov_b32 v65, v51
	v_dual_mov_b32 v67, 0 :: v_dual_mov_b32 v64, v50
	;; [unrolled: 1-line block ×4, first 2 shown]
	s_branch .LBB4_86
.LBB4_71:                               ;   in Loop: Header=BB4_65 Depth=1
	v_ashrrev_i32_e32 v64, 31, v51
	s_mov_b32 s22, exec_lo
	s_delay_alu instid0(VALU_DEP_1) | instskip(NEXT) | instid1(VALU_DEP_1)
	v_lshrrev_b32_e32 v64, 21, v64
	v_add_co_u32 v64, vcc_lo, v50, v64
	v_add_co_ci_u32_e32 v65, vcc_lo, 0, v51, vcc_lo
	s_delay_alu instid0(VALU_DEP_1) | instskip(NEXT) | instid1(VALU_DEP_1)
	v_ashrrev_i64 v[64:65], 11, v[64:65]
	v_sub_co_u32 v70, vcc_lo, v64, v35
	s_delay_alu instid0(VALU_DEP_2) | instskip(NEXT) | instid1(VALU_DEP_1)
	v_sub_co_ci_u32_e32 v71, vcc_lo, v65, v36, vcc_lo
	v_cmpx_lt_i64_e32 0, v[70:71]
	s_cbranch_execz .LBB4_75
; %bb.72:                               ;   in Loop: Header=BB4_65 Depth=1
	v_add_co_u32 v66, vcc_lo, v48, v132
	v_add_co_ci_u32_e32 v67, vcc_lo, v49, v27, vcc_lo
	s_mov_b32 s23, 0
	s_delay_alu instid0(VALU_DEP_2) | instskip(NEXT) | instid1(VALU_DEP_2)
	v_add_co_u32 v68, vcc_lo, v66, v8
	v_add_co_ci_u32_e32 v69, vcc_lo, v67, v9, vcc_lo
	v_add_co_u32 v80, vcc_lo, v66, v6
	v_add_co_ci_u32_e32 v81, vcc_lo, v67, v7, vcc_lo
	s_delay_alu instid0(VALU_DEP_4) | instskip(NEXT) | instid1(VALU_DEP_4)
	v_add_co_u32 v66, vcc_lo, v68, v54
	v_add_co_ci_u32_e32 v67, vcc_lo, v69, v55, vcc_lo
	s_delay_alu instid0(VALU_DEP_4) | instskip(NEXT) | instid1(VALU_DEP_4)
	v_add_co_u32 v68, vcc_lo, v80, v52
	v_add_co_ci_u32_e32 v69, vcc_lo, v81, v53, vcc_lo
	s_set_inst_prefetch_distance 0x1
.LBB4_73:                               ;   Parent Loop BB4_65 Depth=1
                                        ; =>  This Inner Loop Header: Depth=2
	v_add_co_u32 v133, vcc_lo, v99, v66
	v_add_co_ci_u32_e32 v134, vcc_lo, v101, v67, vcc_lo
	s_clause 0x3
	global_load_b128 v[80:83], v[133:134], off slc dlc
	global_load_b128 v[144:147], v[133:134], off offset:512 slc dlc
	global_load_b128 v[148:151], v[133:134], off offset:1024 slc dlc
	;; [unrolled: 1-line block ×3, first 2 shown]
	v_add_co_u32 v133, vcc_lo, v99, v68
	v_add_co_ci_u32_e32 v134, vcc_lo, v101, v69, vcc_lo
	v_sub_co_u32 v70, vcc_lo, v70, v98
	v_subrev_co_ci_u32_e32 v71, vcc_lo, 0, v71, vcc_lo
	v_add_co_u32 v66, vcc_lo, v66, v102
	v_add_co_ci_u32_e32 v67, vcc_lo, v67, v103, vcc_lo
	s_delay_alu instid0(VALU_DEP_3) | instskip(SKIP_1) | instid1(VALU_DEP_1)
	v_cmp_gt_i64_e32 vcc_lo, 1, v[70:71]
	v_add_co_u32 v68, s11, v68, v102
	v_add_co_ci_u32_e64 v69, s11, v69, v103, s11
	s_waitcnt vmcnt(3)
	global_store_b128 v[133:134], v[80:83], off glc slc dlc
	s_waitcnt vmcnt(2)
	global_store_b128 v[133:134], v[144:147], off offset:512 glc slc dlc
	s_waitcnt vmcnt(1)
	global_store_b128 v[133:134], v[148:151], off offset:1024 glc slc dlc
	;; [unrolled: 2-line block ×3, first 2 shown]
	s_or_b32 s23, vcc_lo, s23
	s_delay_alu instid0(SALU_CYCLE_1)
	s_and_not1_b32 exec_lo, exec_lo, s23
	s_cbranch_execnz .LBB4_73
; %bb.74:                               ;   in Loop: Header=BB4_65 Depth=1
	s_set_inst_prefetch_distance 0x2
	s_or_b32 exec_lo, exec_lo, s23
.LBB4_75:                               ;   in Loop: Header=BB4_65 Depth=1
	s_delay_alu instid0(SALU_CYCLE_1)
	s_or_b32 exec_lo, exec_lo, s22
	v_lshlrev_b64 v[81:82], 11, v[64:65]
	v_mov_b32_e32 v66, 0
	v_mov_b32_e32 v67, 0
	s_mov_b32 s11, 0
	s_mov_b32 s22, exec_lo
                                        ; implicit-def: $vgpr64_vgpr65
                                        ; implicit-def: $vgpr133
                                        ; implicit-def: $vgpr80
                                        ; implicit-def: $vgpr83_vgpr84
	s_delay_alu instid0(VALU_DEP_3)
	v_cmpx_ne_u64_e64 v[50:51], v[81:82]
	s_cbranch_execz .LBB4_85
; %bb.76:                               ;   in Loop: Header=BB4_65 Depth=1
	v_sub_co_u32 v66, vcc_lo, v50, v81
	v_sub_co_ci_u32_e32 v67, vcc_lo, v51, v82, vcc_lo
	s_delay_alu instid0(VALU_DEP_1) | instskip(NEXT) | instid1(VALU_DEP_1)
	v_ashrrev_i32_e32 v64, 31, v67
	v_lshrrev_b32_e32 v64, 23, v64
	s_delay_alu instid0(VALU_DEP_1) | instskip(SKIP_1) | instid1(VALU_DEP_2)
	v_add_co_u32 v68, vcc_lo, v66, v64
	v_add_co_ci_u32_e32 v69, vcc_lo, 0, v67, vcc_lo
	v_and_b32_e32 v71, 0xfffffe00, v68
	s_delay_alu instid0(VALU_DEP_2) | instskip(NEXT) | instid1(VALU_DEP_2)
	v_ashrrev_i64 v[83:84], 9, v[68:69]
	v_sub_co_u32 v64, vcc_lo, v66, v71
	v_add_co_u32 v68, s11, v71, v81
	v_sub_co_ci_u32_e32 v65, vcc_lo, v67, v69, vcc_lo
	v_add_co_ci_u32_e64 v69, s11, v69, v82, s11
	s_mov_b32 s11, exec_lo
	s_delay_alu instid0(VALU_DEP_2)
	v_cmpx_lt_i64_e32 15, v[64:65]
; %bb.77:                               ;   in Loop: Header=BB4_65 Depth=1
	v_dual_mov_b32 v134, v26 :: v_dual_and_b32 v133, 15, v50
	v_add_co_u32 v83, vcc_lo, v83, 1
	v_add_co_ci_u32_e32 v84, vcc_lo, 0, v84, vcc_lo
	s_delay_alu instid0(VALU_DEP_3) | instskip(SKIP_1) | instid1(VALU_DEP_2)
	v_sub_co_u32 v64, vcc_lo, v64, v133
	v_subrev_co_ci_u32_e32 v65, vcc_lo, 0, v65, vcc_lo
	v_add_co_u32 v68, vcc_lo, v64, v68
	s_delay_alu instid0(VALU_DEP_2)
	v_add_co_ci_u32_e32 v69, vcc_lo, v65, v69, vcc_lo
	v_dual_mov_b32 v64, v133 :: v_dual_mov_b32 v65, v134
; %bb.78:                               ;   in Loop: Header=BB4_65 Depth=1
	s_or_b32 exec_lo, exec_lo, s11
	v_lshlrev_b32_e32 v70, 5, v70
	s_mov_b32 s23, exec_lo
	s_delay_alu instid0(VALU_DEP_1) | instskip(NEXT) | instid1(VALU_DEP_1)
	v_sub_nc_u32_e32 v70, v96, v70
	v_ashrrev_i32_e32 v71, 31, v70
	s_delay_alu instid0(VALU_DEP_1) | instskip(NEXT) | instid1(VALU_DEP_1)
	v_lshrrev_b32_e32 v71, 27, v71
	v_add_nc_u32_e32 v71, v70, v71
	s_delay_alu instid0(VALU_DEP_1) | instskip(NEXT) | instid1(VALU_DEP_1)
	v_and_b32_e32 v80, 0xffffffe0, v71
	v_sub_nc_u32_e32 v134, v70, v80
	v_ashrrev_i32_e32 v70, 5, v71
	s_delay_alu instid0(VALU_DEP_2) | instskip(NEXT) | instid1(VALU_DEP_1)
	v_lshlrev_b32_e32 v71, 4, v134
	v_lshl_add_u32 v133, v70, 9, v71
	v_ashrrev_i32_e32 v71, 31, v70
	v_sub_co_u32 v70, s11, v83, v70
	s_delay_alu instid0(VALU_DEP_3) | instskip(SKIP_1) | instid1(VALU_DEP_4)
	v_ashrrev_i32_e32 v135, 31, v133
	v_sub_co_u32 v66, vcc_lo, v66, v133
	v_sub_co_ci_u32_e64 v71, s11, v84, v71, s11
	s_delay_alu instid0(VALU_DEP_3) | instskip(NEXT) | instid1(VALU_DEP_1)
	v_sub_co_ci_u32_e32 v67, vcc_lo, v67, v135, vcc_lo
	v_cmpx_lt_i64_e32 15, v[66:67]
	s_cbranch_execz .LBB4_82
; %bb.79:                               ;   in Loop: Header=BB4_65 Depth=1
	v_add_co_u32 v80, vcc_lo, v34, v132
	v_add_co_ci_u32_e32 v83, vcc_lo, v97, v27, vcc_lo
	s_mov_b32 s24, 0
	s_delay_alu instid0(VALU_DEP_2) | instskip(NEXT) | instid1(VALU_DEP_2)
	v_add_co_u32 v84, vcc_lo, v80, v81
	v_add_co_ci_u32_e32 v83, vcc_lo, v83, v82, vcc_lo
	v_add_co_u32 v80, vcc_lo, v8, v54
	v_add_co_ci_u32_e32 v81, vcc_lo, v9, v55, vcc_lo
	s_delay_alu instid0(VALU_DEP_4) | instskip(NEXT) | instid1(VALU_DEP_4)
	v_add_co_u32 v82, vcc_lo, v84, v133
	v_add_co_ci_u32_e32 v83, vcc_lo, v83, v135, vcc_lo
	v_add_co_u32 v84, vcc_lo, v6, v52
	v_add_co_ci_u32_e32 v133, vcc_lo, v7, v53, vcc_lo
.LBB4_80:                               ;   Parent Loop BB4_65 Depth=1
                                        ; =>  This Inner Loop Header: Depth=2
	s_delay_alu instid0(VALU_DEP_4) | instskip(NEXT) | instid1(VALU_DEP_4)
	v_add_co_u32 v144, vcc_lo, v80, v82
	v_add_co_ci_u32_e32 v145, vcc_lo, v81, v83, vcc_lo
	s_delay_alu instid0(VALU_DEP_4) | instskip(NEXT) | instid1(VALU_DEP_4)
	v_add_co_u32 v148, vcc_lo, v84, v82
	v_add_co_ci_u32_e32 v149, vcc_lo, v133, v83, vcc_lo
	global_load_b128 v[144:147], v[144:145], off slc dlc
	v_sub_co_u32 v66, vcc_lo, v66, v100
	v_subrev_co_ci_u32_e32 v67, vcc_lo, 0, v67, vcc_lo
	v_sub_co_u32 v70, vcc_lo, v70, v98
	v_subrev_co_ci_u32_e32 v71, vcc_lo, 0, v71, vcc_lo
	s_delay_alu instid0(VALU_DEP_3) | instskip(SKIP_1) | instid1(VALU_DEP_1)
	v_cmp_gt_i64_e32 vcc_lo, 16, v[66:67]
	v_add_co_u32 v82, s11, v82, v112
	v_add_co_ci_u32_e64 v83, s11, v83, v113, s11
	s_or_b32 s24, vcc_lo, s24
	s_waitcnt vmcnt(0)
	global_store_b128 v[148:149], v[144:147], off glc slc dlc
	s_and_not1_b32 exec_lo, exec_lo, s24
	s_cbranch_execnz .LBB4_80
; %bb.81:                               ;   in Loop: Header=BB4_65 Depth=1
	s_or_b32 exec_lo, exec_lo, s24
.LBB4_82:                               ;   in Loop: Header=BB4_65 Depth=1
	s_delay_alu instid0(SALU_CYCLE_1)
	s_or_b32 exec_lo, exec_lo, s23
	v_mov_b32_e32 v66, 0
	v_mov_b32_e32 v67, 0
	s_mov_b32 s11, 0
	s_mov_b32 s23, exec_lo
                                        ; implicit-def: $vgpr133
                                        ; implicit-def: $vgpr80
                                        ; implicit-def: $vgpr83_vgpr84
	v_cmpx_ne_u64_e32 0, v[64:65]
	s_cbranch_execz .LBB4_84
; %bb.83:                               ;   in Loop: Header=BB4_65 Depth=1
	v_cmp_lt_i64_e32 vcc_lo, 0, v[70:71]
	s_mov_b32 s11, exec_lo
	v_cndmask_b32_e32 v66, 0, v98, vcc_lo
	s_delay_alu instid0(VALU_DEP_1) | instskip(NEXT) | instid1(VALU_DEP_1)
	v_sub_nc_u32_e32 v66, v66, v70
	v_lshl_add_u32 v133, v66, 5, v134
	s_delay_alu instid0(VALU_DEP_1) | instskip(NEXT) | instid1(VALU_DEP_1)
	v_ashrrev_i32_e32 v66, 31, v133
	v_lshrrev_b32_e32 v66, 27, v66
	s_delay_alu instid0(VALU_DEP_1) | instskip(NEXT) | instid1(VALU_DEP_1)
	v_add_nc_u32_e32 v66, v133, v66
	v_ashrrev_i32_e32 v80, 5, v66
	v_dual_mov_b32 v66, v68 :: v_dual_mov_b32 v67, v69
	s_delay_alu instid0(VALU_DEP_2) | instskip(NEXT) | instid1(VALU_DEP_1)
	v_ashrrev_i32_e32 v81, 31, v80
	v_dual_mov_b32 v84, v81 :: v_dual_mov_b32 v83, v80
.LBB4_84:                               ;   in Loop: Header=BB4_65 Depth=1
	s_or_b32 exec_lo, exec_lo, s23
	s_delay_alu instid0(SALU_CYCLE_1)
	s_and_b32 s11, s11, exec_lo
.LBB4_85:                               ;   in Loop: Header=BB4_65 Depth=1
	s_or_b32 exec_lo, exec_lo, s22
.LBB4_86:                               ;   in Loop: Header=BB4_65 Depth=1
	s_and_saveexec_b32 s22, s11
	s_cbranch_execz .LBB4_96
; %bb.87:                               ;   in Loop: Header=BB4_65 Depth=1
	v_ashrrev_i32_e32 v68, 31, v65
	s_mov_b32 s11, exec_lo
	s_delay_alu instid0(VALU_DEP_1) | instskip(NEXT) | instid1(VALU_DEP_1)
	v_lshrrev_b32_e32 v68, 23, v68
	v_add_co_u32 v68, vcc_lo, v64, v68
	v_add_co_ci_u32_e32 v69, vcc_lo, 0, v65, vcc_lo
	s_delay_alu instid0(VALU_DEP_1) | instskip(NEXT) | instid1(VALU_DEP_1)
	v_ashrrev_i64 v[70:71], 9, v[68:69]
	v_sub_co_u32 v68, vcc_lo, v70, v83
	s_delay_alu instid0(VALU_DEP_2) | instskip(NEXT) | instid1(VALU_DEP_1)
	v_sub_co_ci_u32_e32 v69, vcc_lo, v71, v84, vcc_lo
	v_cmpx_lt_i64_e32 0, v[68:69]
	s_cbranch_execz .LBB4_91
; %bb.88:                               ;   in Loop: Header=BB4_65 Depth=1
	v_ashrrev_i32_e32 v81, 31, v133
	v_add_co_u32 v82, vcc_lo, v34, v132
	v_add_co_ci_u32_e32 v83, vcc_lo, v97, v27, vcc_lo
	s_delay_alu instid0(VALU_DEP_3) | instskip(NEXT) | instid1(VALU_DEP_3)
	v_lshrrev_b32_e32 v81, 27, v81
	v_add_co_u32 v82, vcc_lo, v82, v66
	s_delay_alu instid0(VALU_DEP_3) | instskip(NEXT) | instid1(VALU_DEP_3)
	v_add_co_ci_u32_e32 v83, vcc_lo, v83, v67, vcc_lo
	v_add_nc_u32_e32 v81, v133, v81
	s_delay_alu instid0(VALU_DEP_3) | instskip(NEXT) | instid1(VALU_DEP_3)
	v_add_co_u32 v84, vcc_lo, v82, v8
	v_add_co_ci_u32_e32 v134, vcc_lo, v83, v9, vcc_lo
	s_delay_alu instid0(VALU_DEP_3) | instskip(SKIP_2) | instid1(VALU_DEP_3)
	v_and_b32_e32 v81, 0xffffffe0, v81
	v_add_co_u32 v135, vcc_lo, v82, v6
	v_add_co_ci_u32_e32 v144, vcc_lo, v83, v7, vcc_lo
	v_sub_nc_u32_e32 v81, v133, v81
	s_mov_b32 s23, 0
	s_delay_alu instid0(VALU_DEP_1) | instskip(SKIP_3) | instid1(VALU_DEP_4)
	v_lshl_add_u32 v80, v80, 9, v81
	v_add_co_u32 v81, vcc_lo, v84, v54
	v_add_co_ci_u32_e32 v82, vcc_lo, v134, v55, vcc_lo
	v_add_co_u32 v84, vcc_lo, v135, v52
	v_ashrrev_i32_e32 v83, 31, v80
	v_add_co_ci_u32_e32 v134, vcc_lo, v144, v53, vcc_lo
.LBB4_89:                               ;   Parent Loop BB4_65 Depth=1
                                        ; =>  This Inner Loop Header: Depth=2
	v_add_co_u32 v144, vcc_lo, v80, v81
	s_delay_alu instid0(VALU_DEP_3)
	v_add_co_ci_u32_e32 v145, vcc_lo, v83, v82, vcc_lo
	s_clause 0xf
	flat_load_u8 v135, v[144:145] slc dlc
	flat_load_u8 v146, v[144:145] offset:32 slc dlc
	flat_load_u8 v147, v[144:145] offset:64 slc dlc
	;; [unrolled: 1-line block ×15, first 2 shown]
	v_add_co_u32 v144, vcc_lo, v80, v84
	v_add_co_ci_u32_e32 v145, vcc_lo, v83, v134, vcc_lo
	v_sub_co_u32 v68, vcc_lo, v68, v98
	v_subrev_co_ci_u32_e32 v69, vcc_lo, 0, v69, vcc_lo
	v_add_co_u32 v81, vcc_lo, v81, v112
	v_add_co_ci_u32_e32 v82, vcc_lo, v82, v113, vcc_lo
	v_add_co_u32 v84, vcc_lo, v84, v112
	v_add_co_ci_u32_e32 v134, vcc_lo, v134, v113, vcc_lo
	v_cmp_gt_i64_e32 vcc_lo, 1, v[68:69]
	s_waitcnt vmcnt(15) lgkmcnt(15)
	flat_store_b8 v[144:145], v135 glc slc dlc
	s_waitcnt vmcnt(14) lgkmcnt(15)
	flat_store_b8 v[144:145], v146 offset:32 glc slc dlc
	s_waitcnt vmcnt(13) lgkmcnt(15)
	flat_store_b8 v[144:145], v147 offset:64 glc slc dlc
	;; [unrolled: 2-line block ×15, first 2 shown]
	s_or_b32 s23, vcc_lo, s23
	s_delay_alu instid0(SALU_CYCLE_1)
	s_and_not1_b32 exec_lo, exec_lo, s23
	s_cbranch_execnz .LBB4_89
; %bb.90:                               ;   in Loop: Header=BB4_65 Depth=1
	s_or_b32 exec_lo, exec_lo, s23
.LBB4_91:                               ;   in Loop: Header=BB4_65 Depth=1
	s_delay_alu instid0(SALU_CYCLE_1) | instskip(SKIP_2) | instid1(VALU_DEP_1)
	s_or_b32 exec_lo, exec_lo, s11
	v_lshlrev_b64 v[69:70], 9, v[70:71]
	s_mov_b32 s23, exec_lo
	v_cmpx_ne_u64_e64 v[64:65], v[69:70]
	s_cbranch_execz .LBB4_95
; %bb.92:                               ;   in Loop: Header=BB4_65 Depth=1
	v_ashrrev_i32_e32 v71, 31, v133
	v_lshlrev_b32_e32 v68, 5, v68
	s_delay_alu instid0(VALU_DEP_2) | instskip(NEXT) | instid1(VALU_DEP_1)
	v_lshrrev_b32_e32 v71, 27, v71
	v_add_nc_u32_e32 v71, v133, v71
	s_delay_alu instid0(VALU_DEP_1) | instskip(NEXT) | instid1(VALU_DEP_1)
	v_and_b32_e32 v71, 0xffffffe0, v71
	v_sub_nc_u32_e32 v71, v133, v71
	s_delay_alu instid0(VALU_DEP_1) | instskip(NEXT) | instid1(VALU_DEP_1)
	v_sub_nc_u32_e32 v68, v71, v68
	v_ashrrev_i32_e32 v71, 31, v68
	v_add_co_u32 v80, vcc_lo, v69, v68
	s_delay_alu instid0(VALU_DEP_2) | instskip(NEXT) | instid1(VALU_DEP_2)
	v_add_co_ci_u32_e32 v81, vcc_lo, v70, v71, vcc_lo
	v_sub_co_u32 v64, vcc_lo, v64, v80
	s_delay_alu instid0(VALU_DEP_2) | instskip(NEXT) | instid1(VALU_DEP_1)
	v_sub_co_ci_u32_e32 v65, vcc_lo, v65, v81, vcc_lo
	v_cmp_lt_i64_e32 vcc_lo, 0, v[64:65]
	s_and_b32 exec_lo, exec_lo, vcc_lo
	s_cbranch_execz .LBB4_95
; %bb.93:                               ;   in Loop: Header=BB4_65 Depth=1
	v_add_co_u32 v80, vcc_lo, v34, v132
	v_add_co_ci_u32_e32 v27, vcc_lo, v97, v27, vcc_lo
	s_mov_b32 s24, 0
	s_delay_alu instid0(VALU_DEP_2) | instskip(NEXT) | instid1(VALU_DEP_2)
	v_add_co_u32 v66, vcc_lo, v80, v66
	v_add_co_ci_u32_e32 v27, vcc_lo, v27, v67, vcc_lo
	s_delay_alu instid0(VALU_DEP_2) | instskip(NEXT) | instid1(VALU_DEP_2)
	v_add_co_u32 v66, vcc_lo, v66, v69
	v_add_co_ci_u32_e32 v67, vcc_lo, v27, v70, vcc_lo
	v_add_co_u32 v8, vcc_lo, v8, v54
	v_add_co_ci_u32_e32 v9, vcc_lo, v9, v55, vcc_lo
	s_delay_alu instid0(VALU_DEP_4) | instskip(NEXT) | instid1(VALU_DEP_4)
	v_add_co_u32 v27, vcc_lo, v66, v68
	v_add_co_ci_u32_e32 v54, vcc_lo, v67, v71, vcc_lo
	v_add_co_u32 v6, vcc_lo, v6, v52
	v_add_co_ci_u32_e32 v7, vcc_lo, v7, v53, vcc_lo
.LBB4_94:                               ;   Parent Loop BB4_65 Depth=1
                                        ; =>  This Inner Loop Header: Depth=2
	s_delay_alu instid0(VALU_DEP_4) | instskip(NEXT) | instid1(VALU_DEP_4)
	v_add_co_u32 v52, vcc_lo, v8, v27
	v_add_co_ci_u32_e32 v53, vcc_lo, v9, v54, vcc_lo
	v_sub_co_u32 v64, vcc_lo, v64, v114
	v_subrev_co_ci_u32_e32 v65, vcc_lo, 0, v65, vcc_lo
	flat_load_u8 v55, v[52:53] slc dlc
	v_add_co_u32 v52, vcc_lo, v6, v27
	v_add_co_ci_u32_e32 v53, vcc_lo, v7, v54, vcc_lo
	v_cmp_gt_i64_e32 vcc_lo, 1, v[64:65]
	v_add_co_u32 v27, s11, v27, v114
	s_delay_alu instid0(VALU_DEP_1)
	v_add_co_ci_u32_e64 v54, s11, v54, v115, s11
	s_or_b32 s24, vcc_lo, s24
	s_waitcnt vmcnt(0) lgkmcnt(0)
	flat_store_b8 v[52:53], v55 glc slc dlc
	s_and_not1_b32 exec_lo, exec_lo, s24
	s_cbranch_execnz .LBB4_94
.LBB4_95:                               ;   in Loop: Header=BB4_65 Depth=1
	s_or_b32 exec_lo, exec_lo, s23
.LBB4_96:                               ;   in Loop: Header=BB4_65 Depth=1
	s_delay_alu instid0(SALU_CYCLE_1) | instskip(NEXT) | instid1(SALU_CYCLE_1)
	s_or_b32 exec_lo, exec_lo, s22
	s_xor_b32 s11, exec_lo, -1
.LBB4_97:                               ;   in Loop: Header=BB4_65 Depth=1
	s_or_b32 exec_lo, exec_lo, s12
.LBB4_98:                               ;   in Loop: Header=BB4_65 Depth=1
	s_and_saveexec_b32 s22, s11
	s_cbranch_execz .LBB4_700
; %bb.99:                               ;   in Loop: Header=BB4_65 Depth=1
	s_mov_b32 s23, exec_lo
	v_cmpx_lt_i64_e32 0, v[50:51]
	s_cbranch_execz .LBB4_699
; %bb.100:                              ;   in Loop: Header=BB4_65 Depth=1
	v_mov_b32_e32 v6, 0
	v_mov_b32_e32 v7, 0
	s_add_i32 s24, s14, -1
	s_cmp_gt_u32 s14, 1
	s_mov_b32 s25, 0
	s_cselect_b32 s26, -1, 0
.LBB4_101:                              ;   Parent Loop BB4_65 Depth=1
                                        ; =>  This Loop Header: Depth=2
                                        ;       Child Loop BB4_103 Depth 3
                                        ;         Child Loop BB4_112 Depth 4
                                        ;         Child Loop BB4_139 Depth 4
	;; [unrolled: 1-line block ×8, first 2 shown]
                                        ;       Child Loop BB4_242 Depth 3
                                        ;         Child Loop BB4_248 Depth 4
                                        ;         Child Loop BB4_275 Depth 4
                                        ;       Child Loop BB4_299 Depth 3
                                        ;         Child Loop BB4_301 Depth 4
                                        ;           Child Loop BB4_309 Depth 5
                                        ;           Child Loop BB4_341 Depth 5
	;; [unrolled: 1-line block ×8, first 2 shown]
                                        ;         Child Loop BB4_444 Depth 4
                                        ;           Child Loop BB4_450 Depth 5
                                        ;           Child Loop BB4_482 Depth 5
                                        ;       Child Loop BB4_507 Depth 3
                                        ;         Child Loop BB4_516 Depth 4
                                        ;         Child Loop BB4_543 Depth 4
	;; [unrolled: 1-line block ×8, first 2 shown]
                                        ;       Child Loop BB4_644 Depth 3
                                        ;         Child Loop BB4_650 Depth 4
                                        ;         Child Loop BB4_677 Depth 4
	v_sub_co_u32 v8, vcc_lo, v50, v6
	v_sub_co_ci_u32_e32 v9, vcc_lo, v51, v7, vcc_lo
	v_mov_b32_e32 v64, 0
	s_delay_alu instid0(VALU_DEP_2) | instskip(SKIP_1) | instid1(VALU_DEP_1)
	v_cmp_lt_i64_e32 vcc_lo, v[32:33], v[8:9]
	v_cndmask_b32_e32 v8, v8, v32, vcc_lo
	v_max_i32_e32 v66, 0, v8
	s_delay_alu instid0(VALU_DEP_1) | instskip(SKIP_1) | instid1(VALU_DEP_2)
	v_add_nc_u32_e32 v9, 31, v66
	v_cmp_lt_i32_e32 vcc_lo, 0, v8
	v_lshrrev_b32_e32 v9, 1, v9
	s_and_b32 s27, s21, vcc_lo
	s_delay_alu instid0(VALU_DEP_1) | instskip(NEXT) | instid1(VALU_DEP_1)
	v_and_b32_e32 v9, 0x3ffffff0, v9
	v_max_i32_e32 v67, s19, v9
	s_delay_alu instid0(VALU_DEP_1)
	v_dual_mov_b32 v9, 0 :: v_dual_mov_b32 v8, v67
	s_and_saveexec_b32 s28, s27
	s_cbranch_execz .LBB4_240
; %bb.102:                              ;   in Loop: Header=BB4_101 Depth=2
	v_mov_b32_e32 v64, 0
	v_mov_b32_e32 v8, v67
	s_mov_b32 s30, 1
	s_mov_b32 vcc_hi, -1
	s_mov_b32 s29, 0
.LBB4_103:                              ;   Parent Loop BB4_65 Depth=1
                                        ;     Parent Loop BB4_101 Depth=2
                                        ; =>    This Loop Header: Depth=3
                                        ;         Child Loop BB4_112 Depth 4
                                        ;         Child Loop BB4_139 Depth 4
	;; [unrolled: 1-line block ×8, first 2 shown]
	s_and_saveexec_b32 s11, s0
	s_cbranch_execz .LBB4_106
; %bb.104:                              ;   in Loop: Header=BB4_103 Depth=3
	s_cbranch_execnz .LBB4_764
; %bb.105:                              ;   in Loop: Header=BB4_103 Depth=3
	ds_load_b64 v[52:53], v0
	s_waitcnt lgkmcnt(0)
	v_add_co_u32 v9, vcc_lo, v52, v128
	v_add_co_ci_u32_e32 v27, vcc_lo, v53, v129, vcc_lo
	v_ashrrev_i32_e32 v53, 31, v64
	s_delay_alu instid0(VALU_DEP_3) | instskip(NEXT) | instid1(VALU_DEP_3)
	v_add_co_u32 v9, vcc_lo, v9, v6
	v_add_co_ci_u32_e32 v27, vcc_lo, v27, v7, vcc_lo
	s_delay_alu instid0(VALU_DEP_2) | instskip(NEXT) | instid1(VALU_DEP_2)
	v_add_co_u32 v52, vcc_lo, v9, v64
	v_add_co_ci_u32_e32 v53, vcc_lo, v27, v53, vcc_lo
	v_mov_b32_e32 v27, v26
	ds_store_b64 v0, v[52:53]
	ds_store_b64 v0, v[26:27]
.LBB4_106:                              ;   in Loop: Header=BB4_103 Depth=3
	s_or_b32 exec_lo, exec_lo, s11
	v_and_b32_e32 v9, 8, v86
	s_mov_b32 s12, -1
	s_mov_b32 s11, exec_lo
	s_delay_alu instid0(VALU_DEP_1)
	v_cmpx_ne_u32_e32 0, v9
	s_cbranch_execz .LBB4_120
; %bb.107:                              ;   in Loop: Header=BB4_103 Depth=3
	v_add_co_u32 v54, vcc_lo, v22, 8
	v_add_co_ci_u32_e32 v55, vcc_lo, 0, v23, vcc_lo
	v_add_co_u32 v52, vcc_lo, v18, 2
	v_add_co_ci_u32_e32 v53, vcc_lo, 0, v19, vcc_lo
	v_mov_b32_e32 v9, 1
	s_mov_b32 s12, exec_lo
	s_delay_alu instid0(VALU_DEP_2)
	v_cmpx_lt_u64_e64 v[54:55], v[52:53]
	s_cbranch_execz .LBB4_119
; %bb.108:                              ;   in Loop: Header=BB4_103 Depth=3
	v_mov_b32_e32 v9, 0
	s_mov_b32 s31, 0
                                        ; implicit-def: $sgpr34
	s_branch .LBB4_112
.LBB4_109:                              ;   in Loop: Header=BB4_112 Depth=4
	s_or_b32 exec_lo, exec_lo, s38
	v_mov_b32_e32 v27, 0
	s_or_not1_b32 s37, s37, exec_lo
.LBB4_110:                              ;   in Loop: Header=BB4_112 Depth=4
	s_or_b32 exec_lo, exec_lo, s36
	s_delay_alu instid0(VALU_DEP_1) | instskip(SKIP_2) | instid1(SALU_CYCLE_1)
	v_mov_b32_e32 v9, v27
	s_and_not1_b32 vcc_lo, s34, exec_lo
	s_and_b32 s34, s37, exec_lo
	s_or_b32 s34, vcc_lo, s34
.LBB4_111:                              ;   in Loop: Header=BB4_112 Depth=4
	s_or_b32 exec_lo, exec_lo, s35
	s_waitcnt vmcnt(0) lgkmcnt(0)
	v_add_co_u32 v54, vcc_lo, v22, 8
	v_add_co_ci_u32_e32 v55, vcc_lo, 0, v23, vcc_lo
	s_xor_b32 s35, s34, -1
	s_delay_alu instid0(VALU_DEP_1) | instskip(SKIP_1) | instid1(SALU_CYCLE_1)
	v_cmp_ge_u64_e32 vcc_lo, v[54:55], v[52:53]
	s_or_b32 vcc_lo, s35, vcc_lo
	s_and_b32 vcc_lo, exec_lo, vcc_lo
	s_delay_alu instid0(SALU_CYCLE_1) | instskip(NEXT) | instid1(SALU_CYCLE_1)
	s_or_b32 s31, vcc_lo, s31
	s_and_not1_b32 exec_lo, exec_lo, s31
	s_cbranch_execz .LBB4_118
.LBB4_112:                              ;   Parent Loop BB4_65 Depth=1
                                        ;     Parent Loop BB4_101 Depth=2
                                        ;       Parent Loop BB4_103 Depth=3
                                        ; =>      This Inner Loop Header: Depth=4
	s_sleep 1
	flat_load_b64 v[22:23], v[16:17] glc
	v_and_b32_e32 v27, 64, v86
	s_and_not1_b32 s34, s34, exec_lo
	s_mov_b32 s35, exec_lo
	s_delay_alu instid0(VALU_DEP_1)
	v_cmpx_eq_u32_e32 0, v27
	s_cbranch_execz .LBB4_111
; %bb.113:                              ;   in Loop: Header=BB4_112 Depth=4
	v_add_nc_u32_e32 v27, 1, v9
	s_mov_b32 s37, -1
	s_mov_b32 s36, exec_lo
	v_cmpx_lt_i32_e32 0x270e, v9
	s_cbranch_execz .LBB4_110
; %bb.114:                              ;   in Loop: Header=BB4_112 Depth=4
	s_cbranch_execnz .LBB4_779
; %bb.115:                              ;   in Loop: Header=BB4_112 Depth=4
	ds_load_b64 v[54:55], v0
	s_mov_b32 s38, exec_lo
	s_waitcnt vmcnt(0) lgkmcnt(0)
	s_waitcnt_vscnt null, 0x0
	flat_load_b32 v9, v[54:55] glc
	s_waitcnt vmcnt(0) lgkmcnt(0)
	buffer_gl1_inv
	buffer_gl0_inv
	v_cmpx_ne_u32_e32 0, v9
	s_cbranch_execz .LBB4_109
; %bb.116:                              ;   in Loop: Header=BB4_112 Depth=4
	ds_store_b32 v0, v9
	s_cbranch_execnz .LBB4_797
; %bb.117:                              ;   in Loop: Header=BB4_112 Depth=4
	v_or_b32_e32 v86, 64, v86
	s_xor_b32 s37, exec_lo, -1
	s_branch .LBB4_109
.LBB4_118:                              ;   in Loop: Header=BB4_103 Depth=3
	s_or_b32 exec_lo, exec_lo, s31
	v_and_b32_e32 v9, 8, v86
.LBB4_119:                              ;   in Loop: Header=BB4_103 Depth=3
	s_or_b32 exec_lo, exec_lo, s12
	s_delay_alu instid0(VALU_DEP_1)
	v_cmp_eq_u32_e32 vcc_lo, 0, v9
	;;#ASMSTART
	s_wakeup
	;;#ASMEND
	s_or_not1_b32 s12, vcc_lo, exec_lo
.LBB4_120:                              ;   in Loop: Header=BB4_103 Depth=3
	s_or_b32 exec_lo, exec_lo, s11
	v_sub_nc_u32_e32 v9, v66, v64
	s_xor_b32 s11, s12, -1
	s_delay_alu instid0(VALU_DEP_1)
	v_min_i32_e32 v8, v8, v9
	s_and_saveexec_b32 s12, s11
	s_cbranch_execz .LBB4_130
; %bb.121:                              ;   in Loop: Header=BB4_103 Depth=3
	v_and_b32_e32 v9, 0x100, v86
	v_and_b32_e32 v27, 7, v18
	s_mov_b32 s11, -1
	s_mov_b32 s31, exec_lo
                                        ; implicit-def: $vgpr52_vgpr53
	s_delay_alu instid0(VALU_DEP_2)
	v_cmpx_ne_u32_e32 0, v9
	s_cbranch_execz .LBB4_125
; %bb.122:                              ;   in Loop: Header=BB4_103 Depth=3
	v_mad_u64_u32 v[54:55], null, v27, 24, v[4:5]
	v_ashrrev_i32_e32 v9, 31, v8
	flat_load_b32 v52, v[54:55]
	flat_store_b64 v[54:55], v[8:9] offset:8
	s_waitcnt vmcnt(0) lgkmcnt(1)
	v_cmp_ne_u32_e32 vcc_lo, 1, v52
	v_cmp_eq_u32_e64 s11, 1, v52
                                        ; implicit-def: $vgpr52_vgpr53
	s_delay_alu instid0(VALU_DEP_1)
	s_and_saveexec_b32 s34, s11
	s_cbranch_execz .LBB4_124
; %bb.123:                              ;   in Loop: Header=BB4_103 Depth=3
	flat_load_b32 v52, v[54:55] offset:4 glc
	s_waitcnt vmcnt(0) lgkmcnt(0)
	v_ashrrev_i32_e32 v53, 31, v52
.LBB4_124:                              ;   in Loop: Header=BB4_103 Depth=3
	s_or_b32 exec_lo, exec_lo, s34
	s_delay_alu instid0(SALU_CYCLE_1)
	s_or_not1_b32 s11, vcc_lo, exec_lo
.LBB4_125:                              ;   in Loop: Header=BB4_103 Depth=3
	s_or_b32 exec_lo, exec_lo, s31
	s_and_saveexec_b32 vcc_lo, s11
; %bb.126:                              ;   in Loop: Header=BB4_103 Depth=3
	v_mad_i64_i32 v[52:53], null, v27, v87, 0
; %bb.127:                              ;   in Loop: Header=BB4_103 Depth=3
	s_or_b32 exec_lo, exec_lo, vcc_lo
	s_delay_alu instid0(VALU_DEP_1) | instskip(SKIP_1) | instid1(VALU_DEP_3)
	v_add_co_u32 v52, vcc_lo, v20, v52
	v_and_b32_e32 v9, 0x2000, v86
	v_add_co_ci_u32_e32 v53, vcc_lo, v21, v53, vcc_lo
	s_mov_b32 s11, exec_lo
	ds_store_b64 v0, v[52:53] offset:784
	v_cmpx_ne_u32_e32 0, v9
	s_cbranch_execz .LBB4_129
; %bb.128:                              ;   in Loop: Header=BB4_103 Depth=3
	ds_load_b64 v[52:53], v0 offset:584
	s_waitcnt lgkmcnt(0)
	v_add_co_u32 v52, vcc_lo, v52, 1
	v_add_co_ci_u32_e32 v53, vcc_lo, 0, v53, vcc_lo
	ds_store_b64 v0, v[52:53] offset:584
.LBB4_129:                              ;   in Loop: Header=BB4_103 Depth=3
	s_or_b32 exec_lo, exec_lo, s11
	v_add_co_u32 v18, vcc_lo, v18, 2
	v_add_co_ci_u32_e32 v19, vcc_lo, 0, v19, vcc_lo
.LBB4_130:                              ;   in Loop: Header=BB4_103 Depth=3
	s_or_b32 exec_lo, exec_lo, s12
	s_and_saveexec_b32 s11, s4
	s_cbranch_execz .LBB4_152
; %bb.131:                              ;   in Loop: Header=BB4_103 Depth=3
	s_and_saveexec_b32 s12, s5
	s_delay_alu instid0(SALU_CYCLE_1)
	s_xor_b32 s12, exec_lo, s12
	s_cbranch_execz .LBB4_149
; %bb.132:                              ;   in Loop: Header=BB4_103 Depth=3
	s_and_saveexec_b32 s31, s2
	s_cbranch_execz .LBB4_148
; %bb.133:                              ;   in Loop: Header=BB4_103 Depth=3
	s_mov_b32 s35, exec_lo
	s_mov_b32 s34, exec_lo
	v_mbcnt_lo_u32_b32 v9, s35, 0
	s_waitcnt lgkmcnt(0)
	s_waitcnt_vscnt null, 0x0
	buffer_gl1_inv
	buffer_gl0_inv
	v_cmpx_eq_u32_e32 0, v9
	s_cbranch_execz .LBB4_135
; %bb.134:                              ;   in Loop: Header=BB4_103 Depth=3
	s_bcnt1_i32_b32 vcc_lo, s35
	s_delay_alu instid0(SALU_CYCLE_1)
	v_dual_mov_b32 v53, v26 :: v_dual_mov_b32 v52, vcc_lo
	ds_add_u64 v0, v[52:53]
	s_cbranch_execnz .LBB4_815
.LBB4_135:                              ;   in Loop: Header=BB4_103 Depth=3
	s_or_b32 exec_lo, exec_lo, s34
	s_cbranch_execnz .LBB4_803
; %bb.136:                              ;   in Loop: Header=BB4_103 Depth=3
	ds_load_b64 v[52:53], v0
	v_add_co_u32 v10, vcc_lo, v10, v98
	v_add_co_ci_u32_e32 v11, vcc_lo, 0, v11, vcc_lo
	s_mov_b32 s34, exec_lo
	s_waitcnt lgkmcnt(0)
	s_delay_alu instid0(VALU_DEP_1)
	v_cmpx_lt_u64_e64 v[52:53], v[10:11]
	s_cbranch_execz .LBB4_147
; %bb.137:                              ;   in Loop: Header=BB4_103 Depth=3
	s_mov_b32 s35, 0
	s_mov_b32 s38, 0
                                        ; implicit-def: $sgpr36
                                        ; implicit-def: $sgpr37
	s_branch .LBB4_139
.LBB4_138:                              ;   in Loop: Header=BB4_139 Depth=4
	s_or_b32 exec_lo, exec_lo, s40
	s_delay_alu instid0(SALU_CYCLE_1) | instskip(NEXT) | instid1(SALU_CYCLE_1)
	s_and_b32 vcc_lo, exec_lo, vcc_lo
	s_or_b32 s35, vcc_lo, s35
	s_and_not1_b32 vcc_lo, s36, exec_lo
	s_and_b32 s36, s37, exec_lo
	s_delay_alu instid0(SALU_CYCLE_1)
	s_or_b32 s36, vcc_lo, s36
	s_and_not1_b32 exec_lo, exec_lo, s35
	s_cbranch_execz .LBB4_145
.LBB4_139:                              ;   Parent Loop BB4_65 Depth=1
                                        ;     Parent Loop BB4_101 Depth=2
                                        ;       Parent Loop BB4_103 Depth=3
                                        ; =>      This Inner Loop Header: Depth=4
	s_add_i32 s38, s38, 1
                                        ; implicit-def: $sgpr40
	s_delay_alu instid0(SALU_CYCLE_1) | instskip(SKIP_1) | instid1(SALU_CYCLE_1)
	s_cmpk_lg_i32 s38, 0x2710
	s_cselect_b32 s39, -1, 0
	s_and_b32 vcc_lo, exec_lo, s39
	s_cbranch_vccz .LBB4_143
.LBB4_140:                              ;   in Loop: Header=BB4_139 Depth=4
	s_and_not1_b32 s37, s37, exec_lo
	s_and_b32 s40, s40, exec_lo
	s_mov_b32 vcc_lo, -1
	s_or_b32 s37, s37, s40
	s_and_saveexec_b32 s40, s39
	s_cbranch_execz .LBB4_138
; %bb.141:                              ;   in Loop: Header=BB4_139 Depth=4
	s_sleep 1
	s_cbranch_execnz .LBB4_833
; %bb.142:                              ;   in Loop: Header=BB4_139 Depth=4
	ds_load_b64 v[52:53], v0
	s_and_not1_b32 s37, s37, exec_lo
	s_waitcnt lgkmcnt(0)
	v_cmp_ge_u64_e32 vcc_lo, v[52:53], v[10:11]
	s_or_not1_b32 vcc_lo, vcc_lo, exec_lo
	s_branch .LBB4_138
.LBB4_143:                              ;   in Loop: Header=BB4_139 Depth=4
	s_cbranch_execnz .LBB4_839
; %bb.144:                              ;   in Loop: Header=BB4_139 Depth=4
	ds_load_b64 v[52:53], v0
	s_and_not1_b32 s39, s39, exec_lo
	s_mov_b32 s38, 0
	s_mov_b32 s40, -1
	s_waitcnt lgkmcnt(0)
	flat_load_b32 v9, v[52:53] glc
	s_waitcnt vmcnt(0) lgkmcnt(0)
	buffer_gl1_inv
	buffer_gl0_inv
	v_cmp_eq_u32_e32 vcc_lo, 0, v9
	s_and_b32 vcc_lo, vcc_lo, exec_lo
	s_delay_alu instid0(SALU_CYCLE_1)
	s_or_b32 s39, s39, vcc_lo
	s_branch .LBB4_140
.LBB4_145:                              ;   in Loop: Header=BB4_103 Depth=3
	s_or_b32 exec_lo, exec_lo, s35
	s_and_saveexec_b32 vcc_lo, s36
	s_delay_alu instid0(SALU_CYCLE_1)
	s_xor_b32 vcc_lo, exec_lo, vcc_lo
	s_cbranch_execz .LBB4_147
; %bb.146:                              ;   in Loop: Header=BB4_103 Depth=3
	ds_store_b32 v0, v119
	s_cbranch_execnz .LBB4_953
.LBB4_147:                              ;   in Loop: Header=BB4_103 Depth=3
	s_or_b32 exec_lo, exec_lo, s34
	;;#ASMSTART
	s_wakeup
	;;#ASMEND
.LBB4_148:                              ;   in Loop: Header=BB4_103 Depth=3
	s_or_b32 exec_lo, exec_lo, s31
.LBB4_149:                              ;   in Loop: Header=BB4_103 Depth=3
	s_and_not1_saveexec_b32 s12, s12
	s_cbranch_execz .LBB4_151
; %bb.150:                              ;   in Loop: Header=BB4_103 Depth=3
	s_waitcnt lgkmcnt(0)
	s_waitcnt_vscnt null, 0x0
	buffer_gl1_inv
	buffer_gl0_inv
	s_barrier
.LBB4_151:                              ;   in Loop: Header=BB4_103 Depth=3
	s_or_b32 exec_lo, exec_lo, s12
.LBB4_152:                              ;   in Loop: Header=BB4_103 Depth=3
	s_delay_alu instid0(SALU_CYCLE_1)
	s_or_b32 exec_lo, exec_lo, s11
	s_cbranch_execnz .LBB4_762
; %bb.153:                              ;   in Loop: Header=BB4_103 Depth=3
	ds_load_b32 v27, v0
	v_and_b32_e32 v9, 0x4000, v86
	s_xor_b32 s11, s3, -1
	s_delay_alu instid0(VALU_DEP_1) | instskip(SKIP_1) | instid1(SALU_CYCLE_1)
	v_cmp_ne_u32_e32 vcc_lo, 0, v9
	s_and_b32 s12, s11, vcc_lo
	s_and_saveexec_b32 s11, s12
	s_cbranch_execz .LBB4_175
; %bb.154:                              ;   in Loop: Header=BB4_103 Depth=3
	s_and_saveexec_b32 s12, s5
	s_delay_alu instid0(SALU_CYCLE_1)
	s_xor_b32 s12, exec_lo, s12
	s_cbranch_execz .LBB4_172
; %bb.155:                              ;   in Loop: Header=BB4_103 Depth=3
	s_and_saveexec_b32 s31, s2
	s_cbranch_execz .LBB4_171
; %bb.156:                              ;   in Loop: Header=BB4_103 Depth=3
	s_mov_b32 s35, exec_lo
	s_mov_b32 s34, exec_lo
	v_mbcnt_lo_u32_b32 v9, s35, 0
	s_waitcnt lgkmcnt(0)
	s_waitcnt_vscnt null, 0x0
	buffer_gl1_inv
	buffer_gl0_inv
	v_cmpx_eq_u32_e32 0, v9
	s_cbranch_execz .LBB4_158
; %bb.157:                              ;   in Loop: Header=BB4_103 Depth=3
	s_bcnt1_i32_b32 vcc_lo, s35
	s_delay_alu instid0(SALU_CYCLE_1)
	v_dual_mov_b32 v53, v26 :: v_dual_mov_b32 v52, vcc_lo
	ds_add_u64 v0, v[52:53]
	s_cbranch_execnz .LBB4_831
.LBB4_158:                              ;   in Loop: Header=BB4_103 Depth=3
	s_or_b32 exec_lo, exec_lo, s34
	s_cbranch_execnz .LBB4_829
; %bb.159:                              ;   in Loop: Header=BB4_103 Depth=3
	ds_load_b64 v[52:53], v0
	v_add_co_u32 v10, vcc_lo, v10, v98
	v_add_co_ci_u32_e32 v11, vcc_lo, 0, v11, vcc_lo
	s_mov_b32 s34, exec_lo
	s_waitcnt lgkmcnt(0)
	s_delay_alu instid0(VALU_DEP_1)
	v_cmpx_lt_u64_e64 v[52:53], v[10:11]
	s_cbranch_execz .LBB4_170
; %bb.160:                              ;   in Loop: Header=BB4_103 Depth=3
	s_mov_b32 s35, 0
	s_mov_b32 s38, 0
                                        ; implicit-def: $sgpr36
                                        ; implicit-def: $sgpr37
	s_branch .LBB4_162
.LBB4_161:                              ;   in Loop: Header=BB4_162 Depth=4
	s_or_b32 exec_lo, exec_lo, s40
	s_delay_alu instid0(SALU_CYCLE_1) | instskip(NEXT) | instid1(SALU_CYCLE_1)
	s_and_b32 vcc_lo, exec_lo, vcc_lo
	s_or_b32 s35, vcc_lo, s35
	s_and_not1_b32 vcc_lo, s36, exec_lo
	s_and_b32 s36, s37, exec_lo
	s_delay_alu instid0(SALU_CYCLE_1)
	s_or_b32 s36, vcc_lo, s36
	s_and_not1_b32 exec_lo, exec_lo, s35
	s_cbranch_execz .LBB4_168
.LBB4_162:                              ;   Parent Loop BB4_65 Depth=1
                                        ;     Parent Loop BB4_101 Depth=2
                                        ;       Parent Loop BB4_103 Depth=3
                                        ; =>      This Inner Loop Header: Depth=4
	s_add_i32 s38, s38, 1
                                        ; implicit-def: $sgpr40
	s_delay_alu instid0(SALU_CYCLE_1) | instskip(SKIP_1) | instid1(SALU_CYCLE_1)
	s_cmpk_lg_i32 s38, 0x2710
	s_cselect_b32 s39, -1, 0
	s_and_b32 vcc_lo, exec_lo, s39
	s_cbranch_vccz .LBB4_166
.LBB4_163:                              ;   in Loop: Header=BB4_162 Depth=4
	s_and_not1_b32 s37, s37, exec_lo
	s_and_b32 s40, s40, exec_lo
	s_mov_b32 vcc_lo, -1
	s_or_b32 s37, s37, s40
	s_and_saveexec_b32 s40, s39
	s_cbranch_execz .LBB4_161
; %bb.164:                              ;   in Loop: Header=BB4_162 Depth=4
	s_sleep 1
	s_cbranch_execnz .LBB4_871
; %bb.165:                              ;   in Loop: Header=BB4_162 Depth=4
	ds_load_b64 v[52:53], v0
	s_and_not1_b32 s37, s37, exec_lo
	s_waitcnt lgkmcnt(0)
	v_cmp_ge_u64_e32 vcc_lo, v[52:53], v[10:11]
	s_or_not1_b32 vcc_lo, vcc_lo, exec_lo
	s_branch .LBB4_161
.LBB4_166:                              ;   in Loop: Header=BB4_162 Depth=4
	s_cbranch_execnz .LBB4_877
; %bb.167:                              ;   in Loop: Header=BB4_162 Depth=4
	ds_load_b64 v[52:53], v0
	s_and_not1_b32 s39, s39, exec_lo
	s_mov_b32 s38, 0
	s_mov_b32 s40, -1
	s_waitcnt lgkmcnt(0)
	flat_load_b32 v9, v[52:53] glc
	s_waitcnt vmcnt(0) lgkmcnt(0)
	buffer_gl1_inv
	buffer_gl0_inv
	v_cmp_eq_u32_e32 vcc_lo, 0, v9
	s_and_b32 vcc_lo, vcc_lo, exec_lo
	s_delay_alu instid0(SALU_CYCLE_1)
	s_or_b32 s39, s39, vcc_lo
	s_branch .LBB4_163
.LBB4_168:                              ;   in Loop: Header=BB4_103 Depth=3
	s_or_b32 exec_lo, exec_lo, s35
	s_and_saveexec_b32 vcc_lo, s36
	s_delay_alu instid0(SALU_CYCLE_1)
	s_xor_b32 vcc_lo, exec_lo, vcc_lo
	s_cbranch_execz .LBB4_170
; %bb.169:                              ;   in Loop: Header=BB4_103 Depth=3
	ds_store_b32 v0, v119
	s_cbranch_execnz .LBB4_965
.LBB4_170:                              ;   in Loop: Header=BB4_103 Depth=3
	s_or_b32 exec_lo, exec_lo, s34
	;;#ASMSTART
	s_wakeup
	;;#ASMEND
.LBB4_171:                              ;   in Loop: Header=BB4_103 Depth=3
	s_or_b32 exec_lo, exec_lo, s31
.LBB4_172:                              ;   in Loop: Header=BB4_103 Depth=3
	s_and_not1_saveexec_b32 s12, s12
	s_cbranch_execz .LBB4_174
; %bb.173:                              ;   in Loop: Header=BB4_103 Depth=3
	s_waitcnt lgkmcnt(0)
	s_waitcnt_vscnt null, 0x0
	buffer_gl1_inv
	buffer_gl0_inv
	s_barrier
.LBB4_174:                              ;   in Loop: Header=BB4_103 Depth=3
	s_or_b32 exec_lo, exec_lo, s12
.LBB4_175:                              ;   in Loop: Header=BB4_103 Depth=3
	s_delay_alu instid0(SALU_CYCLE_1)
	s_or_b32 exec_lo, exec_lo, s11
	s_cbranch_execnz .LBB4_781
; %bb.176:                              ;   in Loop: Header=BB4_103 Depth=3
	ds_load_b64 v[52:53], v0
	v_mov_b32_e32 v9, 0
	s_waitcnt lgkmcnt(0)
	v_cmp_eq_u64_e32 vcc_lo, 0, v[52:53]
	s_or_b32 s11, vcc_lo, vcc_lo
	s_delay_alu instid0(SALU_CYCLE_1)
	s_and_b32 vcc_lo, exec_lo, s11
	s_cbranch_vccnz .LBB4_210
; %bb.177:                              ;   in Loop: Header=BB4_103 Depth=3
	s_mov_b32 s11, -1
	s_and_saveexec_b32 s12, s1
	s_cbranch_execz .LBB4_179
; %bb.178:                              ;   in Loop: Header=BB4_103 Depth=3
	ds_load_b32 v9, v0 offset:720
	s_waitcnt lgkmcnt(0)
	v_and_b32_e32 v9, 15, v9
	s_delay_alu instid0(VALU_DEP_1)
	v_cmp_eq_u32_e32 vcc_lo, 0, v9
	s_or_not1_b32 s11, vcc_lo, exec_lo
.LBB4_179:                              ;   in Loop: Header=BB4_103 Depth=3
	s_or_b32 exec_lo, exec_lo, s12
	s_and_saveexec_b32 s12, s6
	s_cbranch_execz .LBB4_181
; %bb.180:                              ;   in Loop: Header=BB4_103 Depth=3
	ds_load_b32 v9, v0 offset:784
	s_waitcnt lgkmcnt(0)
	v_and_b32_e32 v9, 15, v9
	s_delay_alu instid0(VALU_DEP_1) | instskip(SKIP_3) | instid1(SALU_CYCLE_1)
	v_cmp_eq_u32_e32 vcc_lo, 0, v9
	s_and_b32 vcc_lo, s11, vcc_lo
	s_and_not1_b32 s11, s11, exec_lo
	s_and_b32 vcc_lo, vcc_lo, exec_lo
	s_or_b32 s11, s11, vcc_lo
.LBB4_181:                              ;   in Loop: Header=BB4_103 Depth=3
	s_or_b32 exec_lo, exec_lo, s12
	v_cmp_eq_u32_e32 vcc_lo, 0, v27
	s_xor_b32 s11, s11, -1
	v_mov_b32_e32 v27, 0
	v_cndmask_b32_e64 v52, 0, 1, s11
	;;#ASMSTART
	;;#ASMEND
	v_dual_cndmask_b32 v9, 0, v8 :: v_dual_mov_b32 v68, v0
	s_delay_alu instid0(VALU_DEP_2) | instskip(SKIP_2) | instid1(VALU_DEP_3)
	v_cmp_ne_u32_e32 vcc_lo, 0, v52
	v_mov_b32_e32 v71, v35
	s_mov_b32 s11, -1
	v_mov_b32_e32 v65, v9
	s_cbranch_vccnz .LBB4_197
; %bb.182:                              ;   in Loop: Header=BB4_103 Depth=3
	v_ashrrev_i32_e32 v27, 31, v9
	s_mov_b32 s12, exec_lo
	s_delay_alu instid0(VALU_DEP_1) | instskip(NEXT) | instid1(VALU_DEP_1)
	v_lshrrev_b32_e32 v27, 21, v27
	v_add_nc_u32_e32 v27, v9, v27
	s_delay_alu instid0(VALU_DEP_1) | instskip(NEXT) | instid1(VALU_DEP_1)
	v_ashrrev_i32_e32 v27, 11, v27
	v_sub_nc_u32_e32 v69, v27, v35
	s_delay_alu instid0(VALU_DEP_1)
	v_cmpx_lt_i32_e32 0, v69
	s_cbranch_execz .LBB4_187
; %bb.183:                              ;   in Loop: Header=BB4_103 Depth=3
	s_cbranch_execnz .LBB4_841
; %bb.184:                              ;   in Loop: Header=BB4_103 Depth=3
	ds_load_b64 v[52:53], v0
	s_mov_b32 s31, 0
	s_waitcnt lgkmcnt(0)
	v_dual_mov_b32 v55, v53 :: v_dual_mov_b32 v54, v52
	s_set_inst_prefetch_distance 0x1
.LBB4_185:                              ;   Parent Loop BB4_65 Depth=1
                                        ;     Parent Loop BB4_101 Depth=2
                                        ;       Parent Loop BB4_103 Depth=3
                                        ; =>      This Inner Loop Header: Depth=4
	s_delay_alu instid0(VALU_DEP_1) | instskip(NEXT) | instid1(VALU_DEP_2)
	v_add_co_u32 v70, vcc_lo, v99, v54
	v_add_co_ci_u32_e32 v71, vcc_lo, v101, v55, vcc_lo
	v_sub_nc_u32_e32 v69, v69, v98
	s_clause 0x3
	global_load_b128 v[80:83], v[70:71], off slc dlc
	global_load_b128 v[132:135], v[70:71], off offset:512 slc dlc
	global_load_b128 v[144:147], v[70:71], off offset:1024 slc dlc
	;; [unrolled: 1-line block ×3, first 2 shown]
	v_add_co_u32 v70, vcc_lo, v99, v52
	v_add_co_ci_u32_e32 v71, vcc_lo, v101, v53, vcc_lo
	v_add_co_u32 v54, vcc_lo, v54, v102
	v_add_co_ci_u32_e32 v55, vcc_lo, v55, v103, vcc_lo
	v_add_co_u32 v52, vcc_lo, v52, v102
	v_cmp_gt_i32_e64 s11, 1, v69
	v_add_co_ci_u32_e32 v53, vcc_lo, v53, v103, vcc_lo
	s_waitcnt vmcnt(3)
	global_store_b128 v[70:71], v[80:83], off glc slc dlc
	s_waitcnt vmcnt(2)
	global_store_b128 v[70:71], v[132:135], off offset:512 glc slc dlc
	s_waitcnt vmcnt(1)
	global_store_b128 v[70:71], v[144:147], off offset:1024 glc slc dlc
	;; [unrolled: 2-line block ×3, first 2 shown]
	s_or_b32 s31, s11, s31
	s_delay_alu instid0(SALU_CYCLE_1)
	s_and_not1_b32 exec_lo, exec_lo, s31
	s_cbranch_execnz .LBB4_185
; %bb.186:                              ;   in Loop: Header=BB4_103 Depth=3
	s_set_inst_prefetch_distance 0x2
	s_or_b32 exec_lo, exec_lo, s31
.LBB4_187:                              ;   in Loop: Header=BB4_103 Depth=3
	s_delay_alu instid0(SALU_CYCLE_1) | instskip(SKIP_3) | instid1(VALU_DEP_1)
	s_or_b32 exec_lo, exec_lo, s12
	v_dual_mov_b32 v27, 0 :: v_dual_lshlrev_b32 v54, 11, v27
	s_mov_b32 s11, 0
	s_mov_b32 s31, exec_lo
                                        ; implicit-def: $vgpr65
                                        ; implicit-def: $vgpr68
                                        ; implicit-def: $vgpr71
	v_cmpx_ne_u32_e64 v9, v54
	s_cbranch_execz .LBB4_196
; %bb.188:                              ;   in Loop: Header=BB4_103 Depth=3
	v_lshlrev_b32_e32 v27, 5, v69
	v_sub_nc_u32_e32 v53, v9, v54
	s_mov_b32 s34, exec_lo
	s_delay_alu instid0(VALU_DEP_2) | instskip(NEXT) | instid1(VALU_DEP_2)
	v_sub_nc_u32_e32 v27, v96, v27
	v_ashrrev_i32_e32 v55, 31, v53
	s_delay_alu instid0(VALU_DEP_2) | instskip(NEXT) | instid1(VALU_DEP_2)
	v_ashrrev_i32_e32 v52, 31, v27
	v_lshrrev_b32_e32 v55, 23, v55
	s_delay_alu instid0(VALU_DEP_2) | instskip(NEXT) | instid1(VALU_DEP_2)
	v_lshrrev_b32_e32 v52, 27, v52
	v_add_nc_u32_e32 v68, v53, v55
	s_delay_alu instid0(VALU_DEP_2) | instskip(NEXT) | instid1(VALU_DEP_2)
	v_add_nc_u32_e32 v52, v27, v52
	v_and_b32_e32 v55, 0xfffffe00, v68
	v_ashrrev_i32_e32 v68, 9, v68
	s_delay_alu instid0(VALU_DEP_3) | instskip(NEXT) | instid1(VALU_DEP_3)
	v_and_b32_e32 v65, 0xffffffe0, v52
	v_sub_nc_u32_e32 v70, v53, v55
	v_ashrrev_i32_e32 v52, 5, v52
	s_delay_alu instid0(VALU_DEP_3) | instskip(NEXT) | instid1(VALU_DEP_3)
	v_sub_nc_u32_e32 v69, v27, v65
	v_cmp_lt_i32_e32 vcc_lo, 15, v70
	s_delay_alu instid0(VALU_DEP_2) | instskip(SKIP_1) | instid1(VALU_DEP_2)
	v_lshlrev_b32_e32 v27, 4, v69
	v_add_co_ci_u32_e64 v68, s11, 0, v68, vcc_lo
	v_lshl_add_u32 v65, v52, 9, v27
	s_delay_alu instid0(VALU_DEP_2) | instskip(NEXT) | instid1(VALU_DEP_2)
	v_sub_nc_u32_e32 v80, v68, v52
	v_sub_nc_u32_e32 v27, v53, v65
	s_delay_alu instid0(VALU_DEP_1)
	v_cmpx_lt_i32_e32 15, v27
	s_cbranch_execz .LBB4_193
; %bb.189:                              ;   in Loop: Header=BB4_103 Depth=3
	s_cbranch_execnz .LBB4_887
; %bb.190:                              ;   in Loop: Header=BB4_103 Depth=3
	ds_load_b64 v[52:53], v0
	v_add_nc_u32_e32 v65, v65, v54
	s_mov_b32 s35, 0
	s_delay_alu instid0(VALU_DEP_1)
	v_ashrrev_i32_e32 v68, 31, v65
.LBB4_191:                              ;   Parent Loop BB4_65 Depth=1
                                        ;     Parent Loop BB4_101 Depth=2
                                        ;       Parent Loop BB4_103 Depth=3
                                        ; =>      This Inner Loop Header: Depth=4
	s_waitcnt lgkmcnt(0)
	v_add_co_u32 v132, s11, v52, v65
	s_delay_alu instid0(VALU_DEP_1)
	v_add_co_ci_u32_e64 v133, s11, v53, v68, s11
	v_sub_nc_u32_e32 v27, v27, v100
	v_add_co_u32 v65, s12, v65, v112
	global_load_b128 v[81:84], v[132:133], off slc dlc
	v_sub_nc_u32_e32 v80, v80, v98
	v_cmp_gt_i32_e64 s11, 16, v27
	v_add_co_ci_u32_e64 v68, s12, v68, v113, s12
	s_delay_alu instid0(VALU_DEP_2)
	s_or_b32 s35, s11, s35
	s_waitcnt vmcnt(0)
	global_store_b128 v[132:133], v[81:84], off glc slc dlc
	s_and_not1_b32 exec_lo, exec_lo, s35
	s_cbranch_execnz .LBB4_191
; %bb.192:                              ;   in Loop: Header=BB4_103 Depth=3
	s_or_b32 exec_lo, exec_lo, s35
.LBB4_193:                              ;   in Loop: Header=BB4_103 Depth=3
	s_delay_alu instid0(SALU_CYCLE_1) | instskip(SKIP_3) | instid1(VALU_DEP_1)
	s_or_b32 exec_lo, exec_lo, s34
	v_dual_mov_b32 v27, 0 :: v_dual_and_b32 v52, 15, v9
	s_mov_b32 s12, 0
	s_mov_b32 s34, exec_lo
                                        ; implicit-def: $vgpr68
                                        ; implicit-def: $vgpr71
	v_cndmask_b32_e32 v65, v70, v52, vcc_lo
	s_delay_alu instid0(VALU_DEP_1)
	v_cmpx_ne_u32_e32 0, v65
; %bb.194:                              ;   in Loop: Header=BB4_103 Depth=3
	v_cmp_lt_i32_e64 s11, 0, v80
	v_sub_nc_u32_e32 v52, v70, v52
	s_mov_b32 s12, exec_lo
	s_delay_alu instid0(VALU_DEP_2) | instskip(NEXT) | instid1(VALU_DEP_1)
	v_cndmask_b32_e64 v27, 0, v98, s11
	v_sub_nc_u32_e32 v27, v27, v80
	s_delay_alu instid0(VALU_DEP_1) | instskip(NEXT) | instid1(VALU_DEP_1)
	v_lshl_add_u32 v68, v27, 5, v69
	v_ashrrev_i32_e32 v27, 31, v68
	s_delay_alu instid0(VALU_DEP_1) | instskip(NEXT) | instid1(VALU_DEP_1)
	v_lshrrev_b32_e32 v27, 27, v27
	v_dual_cndmask_b32 v52, 0, v52 :: v_dual_add_nc_u32 v53, v68, v27
	s_delay_alu instid0(VALU_DEP_1) | instskip(NEXT) | instid1(VALU_DEP_2)
	v_add3_u32 v27, v55, v54, v52
	v_ashrrev_i32_e32 v71, 5, v53
; %bb.195:                              ;   in Loop: Header=BB4_103 Depth=3
	s_or_b32 exec_lo, exec_lo, s34
	s_delay_alu instid0(SALU_CYCLE_1)
	s_and_b32 s11, s12, exec_lo
.LBB4_196:                              ;   in Loop: Header=BB4_103 Depth=3
	s_or_b32 exec_lo, exec_lo, s31
.LBB4_197:                              ;   in Loop: Header=BB4_103 Depth=3
	s_and_saveexec_b32 s12, s11
	s_cbranch_execz .LBB4_209
; %bb.198:                              ;   in Loop: Header=BB4_103 Depth=3
	s_delay_alu instid0(VALU_DEP_1) | instskip(SKIP_1) | instid1(VALU_DEP_1)
	v_ashrrev_i32_e32 v52, 31, v65
	s_mov_b32 s11, exec_lo
	v_lshrrev_b32_e32 v52, 23, v52
	s_delay_alu instid0(VALU_DEP_1) | instskip(NEXT) | instid1(VALU_DEP_1)
	v_add_nc_u32_e32 v52, v65, v52
	v_ashrrev_i32_e32 v70, 9, v52
	s_delay_alu instid0(VALU_DEP_1) | instskip(NEXT) | instid1(VALU_DEP_1)
	v_sub_nc_u32_e32 v69, v70, v71
	v_cmpx_lt_i32_e32 0, v69
	s_cbranch_execz .LBB4_203
; %bb.199:                              ;   in Loop: Header=BB4_103 Depth=3
	s_cbranch_execnz .LBB4_837
; %bb.200:                              ;   in Loop: Header=BB4_103 Depth=3
	v_ashrrev_i32_e32 v52, 31, v68
	s_mov_b32 s31, 0
	s_delay_alu instid0(VALU_DEP_1) | instskip(NEXT) | instid1(VALU_DEP_1)
	v_lshrrev_b32_e32 v52, 27, v52
	v_add_nc_u32_e32 v54, v68, v52
	ds_load_b64 v[52:53], v0
	v_lshlrev_b32_e32 v55, 9, v71
	v_and_b32_e32 v54, 0xffffffe0, v54
	s_delay_alu instid0(VALU_DEP_1) | instskip(NEXT) | instid1(VALU_DEP_1)
	v_sub_nc_u32_e32 v54, v68, v54
	v_add3_u32 v71, v27, v54, v55
	s_delay_alu instid0(VALU_DEP_1)
	v_ashrrev_i32_e32 v80, 31, v71
	s_waitcnt lgkmcnt(0)
	v_dual_mov_b32 v55, v53 :: v_dual_mov_b32 v54, v52
.LBB4_201:                              ;   Parent Loop BB4_65 Depth=1
                                        ;     Parent Loop BB4_101 Depth=2
                                        ;       Parent Loop BB4_103 Depth=3
                                        ; =>      This Inner Loop Header: Depth=4
	s_delay_alu instid0(VALU_DEP_1) | instskip(NEXT) | instid1(VALU_DEP_2)
	v_add_co_u32 v81, vcc_lo, v71, v54
	v_add_co_ci_u32_e32 v82, vcc_lo, v80, v55, vcc_lo
	v_sub_nc_u32_e32 v69, v69, v98
	s_clause 0xf
	flat_load_u8 v83, v[81:82] slc dlc
	flat_load_u8 v84, v[81:82] offset:32 slc dlc
	flat_load_u8 v132, v[81:82] offset:64 slc dlc
	;; [unrolled: 1-line block ×15, first 2 shown]
	v_add_co_u32 v81, vcc_lo, v71, v52
	v_add_co_ci_u32_e32 v82, vcc_lo, v80, v53, vcc_lo
	v_add_co_u32 v54, vcc_lo, v54, v112
	v_add_co_ci_u32_e32 v55, vcc_lo, v55, v113, vcc_lo
	v_add_co_u32 v52, vcc_lo, v52, v112
	v_add_co_ci_u32_e32 v53, vcc_lo, v53, v113, vcc_lo
	v_cmp_gt_i32_e32 vcc_lo, 1, v69
	s_waitcnt vmcnt(15) lgkmcnt(15)
	flat_store_b8 v[81:82], v83 glc slc dlc
	s_waitcnt vmcnt(14) lgkmcnt(15)
	flat_store_b8 v[81:82], v84 offset:32 glc slc dlc
	s_waitcnt vmcnt(13) lgkmcnt(15)
	flat_store_b8 v[81:82], v132 offset:64 glc slc dlc
	;; [unrolled: 2-line block ×15, first 2 shown]
	s_or_b32 s31, vcc_lo, s31
	s_delay_alu instid0(SALU_CYCLE_1)
	s_and_not1_b32 exec_lo, exec_lo, s31
	s_cbranch_execnz .LBB4_201
; %bb.202:                              ;   in Loop: Header=BB4_103 Depth=3
	s_or_b32 exec_lo, exec_lo, s31
.LBB4_203:                              ;   in Loop: Header=BB4_103 Depth=3
	s_delay_alu instid0(SALU_CYCLE_1) | instskip(SKIP_2) | instid1(VALU_DEP_1)
	s_or_b32 exec_lo, exec_lo, s11
	v_lshlrev_b32_e32 v52, 9, v70
	s_mov_b32 s31, exec_lo
	v_cmpx_ne_u32_e64 v65, v52
	s_cbranch_execz .LBB4_208
; %bb.204:                              ;   in Loop: Header=BB4_103 Depth=3
	v_ashrrev_i32_e32 v53, 31, v68
	v_lshlrev_b32_e32 v54, 5, v69
	s_delay_alu instid0(VALU_DEP_2) | instskip(NEXT) | instid1(VALU_DEP_1)
	v_lshrrev_b32_e32 v53, 27, v53
	v_add_nc_u32_e32 v53, v68, v53
	s_delay_alu instid0(VALU_DEP_1) | instskip(NEXT) | instid1(VALU_DEP_1)
	v_and_b32_e32 v53, 0xffffffe0, v53
	v_sub_nc_u32_e32 v53, v68, v53
	s_delay_alu instid0(VALU_DEP_1) | instskip(NEXT) | instid1(VALU_DEP_1)
	v_sub_nc_u32_e32 v53, v53, v54
	v_add_nc_u32_e32 v55, v52, v53
	s_delay_alu instid0(VALU_DEP_1) | instskip(NEXT) | instid1(VALU_DEP_1)
	v_sub_nc_u32_e32 v54, v65, v55
	v_cmp_lt_i32_e32 vcc_lo, 0, v54
	s_and_b32 exec_lo, exec_lo, vcc_lo
	s_cbranch_execz .LBB4_208
; %bb.205:                              ;   in Loop: Header=BB4_103 Depth=3
	s_cbranch_execnz .LBB4_879
; %bb.206:                              ;   in Loop: Header=BB4_103 Depth=3
	ds_load_b64 v[52:53], v0
	v_add_nc_u32_e32 v27, v55, v27
	s_mov_b32 s34, 0
	s_delay_alu instid0(VALU_DEP_1)
	v_ashrrev_i32_e32 v55, 31, v27
.LBB4_207:                              ;   Parent Loop BB4_65 Depth=1
                                        ;     Parent Loop BB4_101 Depth=2
                                        ;       Parent Loop BB4_103 Depth=3
                                        ; =>      This Inner Loop Header: Depth=4
	s_waitcnt lgkmcnt(0)
	v_add_co_u32 v68, vcc_lo, v52, v27
	s_delay_alu instid0(VALU_DEP_2)
	v_add_co_ci_u32_e32 v69, vcc_lo, v53, v55, vcc_lo
	v_sub_nc_u32_e32 v54, v54, v114
	v_add_co_u32 v27, s11, v27, v114
	flat_load_u8 v65, v[68:69] slc dlc
	v_add_co_ci_u32_e64 v55, s11, v55, v115, s11
	v_cmp_gt_i32_e32 vcc_lo, 1, v54
	s_or_b32 s34, vcc_lo, s34
	s_waitcnt vmcnt(0) lgkmcnt(0)
	flat_store_b8 v[68:69], v65 glc slc dlc
	s_and_not1_b32 exec_lo, exec_lo, s34
	s_cbranch_execnz .LBB4_207
.LBB4_208:                              ;   in Loop: Header=BB4_103 Depth=3
	s_or_b32 exec_lo, exec_lo, s31
.LBB4_209:                              ;   in Loop: Header=BB4_103 Depth=3
	s_delay_alu instid0(SALU_CYCLE_1)
	s_or_b32 exec_lo, exec_lo, s12
.LBB4_210:                              ;   in Loop: Header=BB4_103 Depth=3
	s_and_saveexec_b32 s11, s4
	s_cbranch_execz .LBB4_232
; %bb.211:                              ;   in Loop: Header=BB4_103 Depth=3
	s_and_saveexec_b32 s12, s5
	s_delay_alu instid0(SALU_CYCLE_1)
	s_xor_b32 s12, exec_lo, s12
	s_cbranch_execz .LBB4_229
; %bb.212:                              ;   in Loop: Header=BB4_103 Depth=3
	s_and_saveexec_b32 s31, s2
	s_cbranch_execz .LBB4_228
; %bb.213:                              ;   in Loop: Header=BB4_103 Depth=3
	s_mov_b32 s35, exec_lo
	s_mov_b32 s34, exec_lo
	v_mbcnt_lo_u32_b32 v27, s35, 0
	s_waitcnt lgkmcnt(0)
	s_waitcnt_vscnt null, 0x0
	buffer_gl1_inv
	buffer_gl0_inv
	v_cmpx_eq_u32_e32 0, v27
	s_cbranch_execz .LBB4_215
; %bb.214:                              ;   in Loop: Header=BB4_103 Depth=3
	s_bcnt1_i32_b32 vcc_lo, s35
	s_delay_alu instid0(SALU_CYCLE_1)
	v_dual_mov_b32 v53, v26 :: v_dual_mov_b32 v52, vcc_lo
	ds_add_u64 v0, v[52:53]
	s_cbranch_execnz .LBB4_873
.LBB4_215:                              ;   in Loop: Header=BB4_103 Depth=3
	s_or_b32 exec_lo, exec_lo, s34
	s_cbranch_execnz .LBB4_857
; %bb.216:                              ;   in Loop: Header=BB4_103 Depth=3
	ds_load_b64 v[52:53], v0
	v_add_co_u32 v10, vcc_lo, v10, v98
	v_add_co_ci_u32_e32 v11, vcc_lo, 0, v11, vcc_lo
	s_mov_b32 s34, exec_lo
	s_waitcnt lgkmcnt(0)
	s_delay_alu instid0(VALU_DEP_1)
	v_cmpx_lt_u64_e64 v[52:53], v[10:11]
	s_cbranch_execz .LBB4_227
; %bb.217:                              ;   in Loop: Header=BB4_103 Depth=3
	s_mov_b32 s35, 0
	s_mov_b32 s38, 0
                                        ; implicit-def: $sgpr36
                                        ; implicit-def: $sgpr37
	s_branch .LBB4_219
.LBB4_218:                              ;   in Loop: Header=BB4_219 Depth=4
	s_or_b32 exec_lo, exec_lo, s40
	s_delay_alu instid0(SALU_CYCLE_1) | instskip(NEXT) | instid1(SALU_CYCLE_1)
	s_and_b32 vcc_lo, exec_lo, vcc_lo
	s_or_b32 s35, vcc_lo, s35
	s_and_not1_b32 vcc_lo, s36, exec_lo
	s_and_b32 s36, s37, exec_lo
	s_delay_alu instid0(SALU_CYCLE_1)
	s_or_b32 s36, vcc_lo, s36
	s_and_not1_b32 exec_lo, exec_lo, s35
	s_cbranch_execz .LBB4_225
.LBB4_219:                              ;   Parent Loop BB4_65 Depth=1
                                        ;     Parent Loop BB4_101 Depth=2
                                        ;       Parent Loop BB4_103 Depth=3
                                        ; =>      This Inner Loop Header: Depth=4
	s_add_i32 s38, s38, 1
                                        ; implicit-def: $sgpr40
	s_delay_alu instid0(SALU_CYCLE_1) | instskip(SKIP_1) | instid1(SALU_CYCLE_1)
	s_cmpk_lg_i32 s38, 0x2710
	s_cselect_b32 s39, -1, 0
	s_and_b32 vcc_lo, exec_lo, s39
	s_cbranch_vccz .LBB4_223
.LBB4_220:                              ;   in Loop: Header=BB4_219 Depth=4
	s_and_not1_b32 s37, s37, exec_lo
	s_and_b32 s40, s40, exec_lo
	s_mov_b32 vcc_lo, -1
	s_or_b32 s37, s37, s40
	s_and_saveexec_b32 s40, s39
	s_cbranch_execz .LBB4_218
; %bb.221:                              ;   in Loop: Header=BB4_219 Depth=4
	s_sleep 1
	s_cbranch_execnz .LBB4_895
; %bb.222:                              ;   in Loop: Header=BB4_219 Depth=4
	ds_load_b64 v[52:53], v0
	s_and_not1_b32 s37, s37, exec_lo
	s_waitcnt lgkmcnt(0)
	v_cmp_ge_u64_e32 vcc_lo, v[52:53], v[10:11]
	s_or_not1_b32 vcc_lo, vcc_lo, exec_lo
	s_branch .LBB4_218
.LBB4_223:                              ;   in Loop: Header=BB4_219 Depth=4
	s_cbranch_execnz .LBB4_903
; %bb.224:                              ;   in Loop: Header=BB4_219 Depth=4
	ds_load_b64 v[52:53], v0
	s_and_not1_b32 s39, s39, exec_lo
	s_mov_b32 s38, 0
	s_mov_b32 s40, -1
	s_waitcnt lgkmcnt(0)
	flat_load_b32 v27, v[52:53] glc
	s_waitcnt vmcnt(0) lgkmcnt(0)
	buffer_gl1_inv
	buffer_gl0_inv
	v_cmp_eq_u32_e32 vcc_lo, 0, v27
	s_and_b32 vcc_lo, vcc_lo, exec_lo
	s_delay_alu instid0(SALU_CYCLE_1)
	s_or_b32 s39, s39, vcc_lo
	s_branch .LBB4_220
.LBB4_225:                              ;   in Loop: Header=BB4_103 Depth=3
	s_or_b32 exec_lo, exec_lo, s35
	s_and_saveexec_b32 vcc_lo, s36
	s_delay_alu instid0(SALU_CYCLE_1)
	s_xor_b32 vcc_lo, exec_lo, vcc_lo
	s_cbranch_execz .LBB4_227
; %bb.226:                              ;   in Loop: Header=BB4_103 Depth=3
	ds_store_b32 v0, v119
	s_cbranch_execnz .LBB4_967
.LBB4_227:                              ;   in Loop: Header=BB4_103 Depth=3
	s_or_b32 exec_lo, exec_lo, s34
	;;#ASMSTART
	s_wakeup
	;;#ASMEND
.LBB4_228:                              ;   in Loop: Header=BB4_103 Depth=3
	s_or_b32 exec_lo, exec_lo, s31
.LBB4_229:                              ;   in Loop: Header=BB4_103 Depth=3
	s_and_not1_saveexec_b32 s12, s12
	s_cbranch_execz .LBB4_231
; %bb.230:                              ;   in Loop: Header=BB4_103 Depth=3
	s_waitcnt lgkmcnt(0)
	s_waitcnt_vscnt null, 0x0
	buffer_gl1_inv
	buffer_gl0_inv
	s_barrier
.LBB4_231:                              ;   in Loop: Header=BB4_103 Depth=3
	s_or_b32 exec_lo, exec_lo, s12
.LBB4_232:                              ;   in Loop: Header=BB4_103 Depth=3
	s_delay_alu instid0(SALU_CYCLE_1) | instskip(SKIP_2) | instid1(VALU_DEP_2)
	s_or_b32 exec_lo, exec_lo, s11
	v_and_b32_e32 v27, 16, v86
	v_cmp_lt_i32_e32 vcc_lo, 0, v9
	v_cmp_ne_u32_e64 s11, 0, v27
	s_delay_alu instid0(VALU_DEP_1) | instskip(NEXT) | instid1(SALU_CYCLE_1)
	s_and_b32 s12, s11, vcc_lo
	s_and_saveexec_b32 s11, s12
	s_cbranch_execz .LBB4_234
; %bb.233:                              ;   in Loop: Header=BB4_103 Depth=3
	s_waitcnt lgkmcnt(0)
	s_waitcnt_vscnt null, 0x0
	buffer_gl1_inv
	buffer_gl0_inv
.LBB4_234:                              ;   in Loop: Header=BB4_103 Depth=3
	s_or_b32 exec_lo, exec_lo, s11
	s_delay_alu instid0(SALU_CYCLE_1)
	s_mov_b32 s11, exec_lo
	v_cmpx_ne_u32_e32 0, v27
	s_cbranch_execz .LBB4_238
; %bb.235:                              ;   in Loop: Header=BB4_103 Depth=3
	s_and_saveexec_b32 s12, s10
	s_cbranch_execz .LBB4_237
; %bb.236:                              ;   in Loop: Header=BB4_103 Depth=3
	s_waitcnt lgkmcnt(0)
	s_waitcnt_vscnt null, 0x0
	flat_store_b32 v[24:25], v119
.LBB4_237:                              ;   in Loop: Header=BB4_103 Depth=3
	s_or_b32 exec_lo, exec_lo, s12
	v_add_co_u32 v18, vcc_lo, v18, 2
	v_add_co_ci_u32_e32 v19, vcc_lo, 0, v19, vcc_lo
	s_waitcnt lgkmcnt(0)
	s_waitcnt_vscnt null, 0x0
	flat_store_b64 v[16:17], v[18:19]
.LBB4_238:                              ;   in Loop: Header=BB4_103 Depth=3
	s_or_b32 exec_lo, exec_lo, s11
	v_dual_mov_b32 v9, s30 :: v_dual_add_nc_u32 v64, v8, v64
	s_mov_b32 s30, 2
	s_delay_alu instid0(VALU_DEP_1) | instskip(SKIP_3) | instid1(SALU_CYCLE_1)
	v_cmp_ge_i32_e32 vcc_lo, v64, v66
	s_xor_b32 s11, vcc_hi, -1
	s_mov_b32 vcc_hi, 0
	s_or_b32 s11, s11, vcc_lo
	s_and_b32 s11, exec_lo, s11
	s_delay_alu instid0(SALU_CYCLE_1) | instskip(NEXT) | instid1(SALU_CYCLE_1)
	s_or_b32 s29, s11, s29
	s_and_not1_b32 exec_lo, exec_lo, s29
	s_cbranch_execnz .LBB4_103
; %bb.239:                              ;   in Loop: Header=BB4_101 Depth=2
	s_or_b32 exec_lo, exec_lo, s29
.LBB4_240:                              ;   in Loop: Header=BB4_101 Depth=2
	s_delay_alu instid0(SALU_CYCLE_1) | instskip(NEXT) | instid1(SALU_CYCLE_1)
	s_or_b32 exec_lo, exec_lo, s28
	s_mov_b32 s12, exec_lo
	v_cmpx_gt_i32_e32 2, v9
	s_cbranch_execz .LBB4_297
; %bb.241:                              ;   in Loop: Header=BB4_101 Depth=2
	v_cmp_eq_u32_e64 s11, 0, v9
	s_mov_b32 s28, 0
.LBB4_242:                              ;   Parent Loop BB4_65 Depth=1
                                        ;     Parent Loop BB4_101 Depth=2
                                        ; =>    This Loop Header: Depth=3
                                        ;         Child Loop BB4_248 Depth 4
                                        ;         Child Loop BB4_275 Depth 4
	v_and_b32_e32 v9, 8, v86
	s_mov_b32 vcc_hi, -1
	s_mov_b32 s29, exec_lo
	s_delay_alu instid0(VALU_DEP_1)
	v_cmpx_ne_u32_e32 0, v9
	s_cbranch_execz .LBB4_256
; %bb.243:                              ;   in Loop: Header=BB4_242 Depth=3
	v_add_co_u32 v54, vcc_lo, v22, 8
	v_add_co_ci_u32_e32 v55, vcc_lo, 0, v23, vcc_lo
	v_add_co_u32 v52, vcc_lo, v18, 2
	v_add_co_ci_u32_e32 v53, vcc_lo, 0, v19, vcc_lo
	v_mov_b32_e32 v9, 1
	s_mov_b32 vcc_hi, exec_lo
	s_delay_alu instid0(VALU_DEP_2)
	v_cmpx_lt_u64_e64 v[54:55], v[52:53]
	s_cbranch_execz .LBB4_255
; %bb.244:                              ;   in Loop: Header=BB4_242 Depth=3
	v_mov_b32_e32 v9, 0
	s_mov_b32 s30, 0
                                        ; implicit-def: $sgpr31
	s_branch .LBB4_248
.LBB4_245:                              ;   in Loop: Header=BB4_248 Depth=4
	s_or_b32 exec_lo, exec_lo, s37
	v_mov_b32_e32 v27, 0
	s_or_not1_b32 s36, s36, exec_lo
.LBB4_246:                              ;   in Loop: Header=BB4_248 Depth=4
	s_or_b32 exec_lo, exec_lo, s35
	s_delay_alu instid0(VALU_DEP_1) | instskip(SKIP_2) | instid1(SALU_CYCLE_1)
	v_mov_b32_e32 v9, v27
	s_and_not1_b32 vcc_lo, s31, exec_lo
	s_and_b32 s31, s36, exec_lo
	s_or_b32 s31, vcc_lo, s31
.LBB4_247:                              ;   in Loop: Header=BB4_248 Depth=4
	s_or_b32 exec_lo, exec_lo, s34
	s_waitcnt vmcnt(0) lgkmcnt(0)
	v_add_co_u32 v54, vcc_lo, v22, 8
	v_add_co_ci_u32_e32 v55, vcc_lo, 0, v23, vcc_lo
	s_xor_b32 s34, s31, -1
	s_delay_alu instid0(VALU_DEP_1) | instskip(SKIP_1) | instid1(SALU_CYCLE_1)
	v_cmp_ge_u64_e32 vcc_lo, v[54:55], v[52:53]
	s_or_b32 vcc_lo, s34, vcc_lo
	s_and_b32 vcc_lo, exec_lo, vcc_lo
	s_delay_alu instid0(SALU_CYCLE_1) | instskip(NEXT) | instid1(SALU_CYCLE_1)
	s_or_b32 s30, vcc_lo, s30
	s_and_not1_b32 exec_lo, exec_lo, s30
	s_cbranch_execz .LBB4_254
.LBB4_248:                              ;   Parent Loop BB4_65 Depth=1
                                        ;     Parent Loop BB4_101 Depth=2
                                        ;       Parent Loop BB4_242 Depth=3
                                        ; =>      This Inner Loop Header: Depth=4
	s_sleep 1
	flat_load_b64 v[22:23], v[16:17] glc
	v_and_b32_e32 v27, 64, v86
	s_and_not1_b32 s31, s31, exec_lo
	s_mov_b32 s34, exec_lo
	s_delay_alu instid0(VALU_DEP_1)
	v_cmpx_eq_u32_e32 0, v27
	s_cbranch_execz .LBB4_247
; %bb.249:                              ;   in Loop: Header=BB4_248 Depth=4
	v_add_nc_u32_e32 v27, 1, v9
	s_mov_b32 s36, -1
	s_mov_b32 s35, exec_lo
	v_cmpx_lt_i32_e32 0x270e, v9
	s_cbranch_execz .LBB4_246
; %bb.250:                              ;   in Loop: Header=BB4_248 Depth=4
	s_cbranch_execnz .LBB4_783
; %bb.251:                              ;   in Loop: Header=BB4_248 Depth=4
	ds_load_b64 v[54:55], v0
	s_mov_b32 s37, exec_lo
	s_waitcnt vmcnt(0) lgkmcnt(0)
	s_waitcnt_vscnt null, 0x0
	flat_load_b32 v9, v[54:55] glc
	s_waitcnt vmcnt(0) lgkmcnt(0)
	buffer_gl1_inv
	buffer_gl0_inv
	v_cmpx_ne_u32_e32 0, v9
	s_cbranch_execz .LBB4_245
; %bb.252:                              ;   in Loop: Header=BB4_248 Depth=4
	ds_store_b32 v0, v9
	s_cbranch_execnz .LBB4_801
; %bb.253:                              ;   in Loop: Header=BB4_248 Depth=4
	v_or_b32_e32 v86, 64, v86
	s_xor_b32 s36, exec_lo, -1
	s_branch .LBB4_245
.LBB4_254:                              ;   in Loop: Header=BB4_242 Depth=3
	s_or_b32 exec_lo, exec_lo, s30
	v_and_b32_e32 v9, 8, v86
.LBB4_255:                              ;   in Loop: Header=BB4_242 Depth=3
	s_or_b32 exec_lo, exec_lo, vcc_hi
	s_delay_alu instid0(VALU_DEP_1)
	v_cmp_eq_u32_e32 vcc_lo, 0, v9
	;;#ASMSTART
	s_wakeup
	;;#ASMEND
	s_or_not1_b32 vcc_hi, vcc_lo, exec_lo
.LBB4_256:                              ;   in Loop: Header=BB4_242 Depth=3
	s_or_b32 exec_lo, exec_lo, s29
	v_sub_nc_u32_e32 v9, v66, v64
	s_xor_b32 s11, s11, -1
	s_delay_alu instid0(SALU_CYCLE_1) | instskip(NEXT) | instid1(SALU_CYCLE_1)
	s_and_b32 s11, exec_lo, s11
	s_or_b32 s28, s11, s28
	s_delay_alu instid0(VALU_DEP_1) | instskip(SKIP_1) | instid1(SALU_CYCLE_1)
	v_min_i32_e32 v8, v8, v9
	s_xor_b32 s11, vcc_hi, -1
	s_and_saveexec_b32 s29, s11
	s_cbranch_execz .LBB4_266
; %bb.257:                              ;   in Loop: Header=BB4_242 Depth=3
	v_and_b32_e32 v9, 0x100, v86
	v_and_b32_e32 v27, 7, v18
	s_mov_b32 s11, -1
	s_mov_b32 vcc_hi, exec_lo
                                        ; implicit-def: $vgpr52_vgpr53
	s_delay_alu instid0(VALU_DEP_2)
	v_cmpx_ne_u32_e32 0, v9
	s_cbranch_execz .LBB4_261
; %bb.258:                              ;   in Loop: Header=BB4_242 Depth=3
	v_mad_u64_u32 v[54:55], null, v27, 24, v[4:5]
	v_ashrrev_i32_e32 v9, 31, v8
	flat_load_b32 v52, v[54:55]
	flat_store_b64 v[54:55], v[8:9] offset:8
	s_waitcnt vmcnt(0) lgkmcnt(1)
	v_cmp_ne_u32_e32 vcc_lo, 1, v52
	v_cmp_eq_u32_e64 s11, 1, v52
                                        ; implicit-def: $vgpr52_vgpr53
	s_delay_alu instid0(VALU_DEP_1)
	s_and_saveexec_b32 s30, s11
	s_cbranch_execz .LBB4_260
; %bb.259:                              ;   in Loop: Header=BB4_242 Depth=3
	flat_load_b32 v52, v[54:55] offset:4 glc
	s_waitcnt vmcnt(0) lgkmcnt(0)
	v_ashrrev_i32_e32 v53, 31, v52
.LBB4_260:                              ;   in Loop: Header=BB4_242 Depth=3
	s_or_b32 exec_lo, exec_lo, s30
	s_delay_alu instid0(SALU_CYCLE_1)
	s_or_not1_b32 s11, vcc_lo, exec_lo
.LBB4_261:                              ;   in Loop: Header=BB4_242 Depth=3
	s_or_b32 exec_lo, exec_lo, vcc_hi
	s_and_saveexec_b32 vcc_lo, s11
; %bb.262:                              ;   in Loop: Header=BB4_242 Depth=3
	v_mad_i64_i32 v[52:53], null, v27, v87, 0
; %bb.263:                              ;   in Loop: Header=BB4_242 Depth=3
	s_or_b32 exec_lo, exec_lo, vcc_lo
	s_delay_alu instid0(VALU_DEP_1) | instskip(SKIP_1) | instid1(VALU_DEP_3)
	v_add_co_u32 v52, vcc_lo, v20, v52
	v_and_b32_e32 v9, 0x2000, v86
	v_add_co_ci_u32_e32 v53, vcc_lo, v21, v53, vcc_lo
	s_mov_b32 s11, exec_lo
	ds_store_b64 v0, v[52:53] offset:784
	v_cmpx_ne_u32_e32 0, v9
	s_cbranch_execz .LBB4_265
; %bb.264:                              ;   in Loop: Header=BB4_242 Depth=3
	ds_load_b64 v[52:53], v0 offset:584
	s_waitcnt lgkmcnt(0)
	v_add_co_u32 v52, vcc_lo, v52, 1
	v_add_co_ci_u32_e32 v53, vcc_lo, 0, v53, vcc_lo
	ds_store_b64 v0, v[52:53] offset:584
.LBB4_265:                              ;   in Loop: Header=BB4_242 Depth=3
	s_or_b32 exec_lo, exec_lo, s11
	v_add_co_u32 v18, vcc_lo, v18, 2
	v_add_co_ci_u32_e32 v19, vcc_lo, 0, v19, vcc_lo
.LBB4_266:                              ;   in Loop: Header=BB4_242 Depth=3
	s_or_b32 exec_lo, exec_lo, s29
	s_and_saveexec_b32 s11, s4
	s_cbranch_execz .LBB4_288
; %bb.267:                              ;   in Loop: Header=BB4_242 Depth=3
	s_and_saveexec_b32 s29, s5
	s_delay_alu instid0(SALU_CYCLE_1)
	s_xor_b32 s29, exec_lo, s29
	s_cbranch_execz .LBB4_285
; %bb.268:                              ;   in Loop: Header=BB4_242 Depth=3
	s_and_saveexec_b32 vcc_hi, s2
	s_cbranch_execz .LBB4_284
; %bb.269:                              ;   in Loop: Header=BB4_242 Depth=3
	s_mov_b32 s31, exec_lo
	s_mov_b32 s30, exec_lo
	v_mbcnt_lo_u32_b32 v9, s31, 0
	s_waitcnt lgkmcnt(0)
	s_waitcnt_vscnt null, 0x0
	buffer_gl1_inv
	buffer_gl0_inv
	v_cmpx_eq_u32_e32 0, v9
	s_cbranch_execz .LBB4_271
; %bb.270:                              ;   in Loop: Header=BB4_242 Depth=3
	s_bcnt1_i32_b32 vcc_lo, s31
	s_delay_alu instid0(SALU_CYCLE_1)
	v_dual_mov_b32 v53, v26 :: v_dual_mov_b32 v52, vcc_lo
	ds_add_u64 v0, v[52:53]
	s_cbranch_execnz .LBB4_819
.LBB4_271:                              ;   in Loop: Header=BB4_242 Depth=3
	s_or_b32 exec_lo, exec_lo, s30
	s_cbranch_execnz .LBB4_807
; %bb.272:                              ;   in Loop: Header=BB4_242 Depth=3
	ds_load_b64 v[52:53], v0
	v_add_co_u32 v10, vcc_lo, v10, v98
	v_add_co_ci_u32_e32 v11, vcc_lo, 0, v11, vcc_lo
	s_mov_b32 s30, exec_lo
	s_waitcnt lgkmcnt(0)
	s_delay_alu instid0(VALU_DEP_1)
	v_cmpx_lt_u64_e64 v[52:53], v[10:11]
	s_cbranch_execz .LBB4_283
; %bb.273:                              ;   in Loop: Header=BB4_242 Depth=3
	s_mov_b32 s31, 0
	s_mov_b32 s36, 0
                                        ; implicit-def: $sgpr34
                                        ; implicit-def: $sgpr35
	s_branch .LBB4_275
.LBB4_274:                              ;   in Loop: Header=BB4_275 Depth=4
	s_or_b32 exec_lo, exec_lo, s38
	s_delay_alu instid0(SALU_CYCLE_1) | instskip(NEXT) | instid1(SALU_CYCLE_1)
	s_and_b32 vcc_lo, exec_lo, vcc_lo
	s_or_b32 s31, vcc_lo, s31
	s_and_not1_b32 vcc_lo, s34, exec_lo
	s_and_b32 s34, s35, exec_lo
	s_delay_alu instid0(SALU_CYCLE_1)
	s_or_b32 s34, vcc_lo, s34
	s_and_not1_b32 exec_lo, exec_lo, s31
	s_cbranch_execz .LBB4_281
.LBB4_275:                              ;   Parent Loop BB4_65 Depth=1
                                        ;     Parent Loop BB4_101 Depth=2
                                        ;       Parent Loop BB4_242 Depth=3
                                        ; =>      This Inner Loop Header: Depth=4
	s_add_i32 s36, s36, 1
                                        ; implicit-def: $sgpr38
	s_delay_alu instid0(SALU_CYCLE_1) | instskip(SKIP_1) | instid1(SALU_CYCLE_1)
	s_cmpk_lg_i32 s36, 0x2710
	s_cselect_b32 s37, -1, 0
	s_and_b32 vcc_lo, exec_lo, s37
	s_cbranch_vccz .LBB4_279
.LBB4_276:                              ;   in Loop: Header=BB4_275 Depth=4
	s_and_not1_b32 s35, s35, exec_lo
	s_and_b32 s38, s38, exec_lo
	s_mov_b32 vcc_lo, -1
	s_or_b32 s35, s35, s38
	s_and_saveexec_b32 s38, s37
	s_cbranch_execz .LBB4_274
; %bb.277:                              ;   in Loop: Header=BB4_275 Depth=4
	s_sleep 1
	s_cbranch_execnz .LBB4_835
; %bb.278:                              ;   in Loop: Header=BB4_275 Depth=4
	ds_load_b64 v[52:53], v0
	s_and_not1_b32 s35, s35, exec_lo
	s_waitcnt lgkmcnt(0)
	v_cmp_ge_u64_e32 vcc_lo, v[52:53], v[10:11]
	s_or_not1_b32 vcc_lo, vcc_lo, exec_lo
	s_branch .LBB4_274
.LBB4_279:                              ;   in Loop: Header=BB4_275 Depth=4
	s_cbranch_execnz .LBB4_843
; %bb.280:                              ;   in Loop: Header=BB4_275 Depth=4
	ds_load_b64 v[52:53], v0
	s_and_not1_b32 s37, s37, exec_lo
	s_mov_b32 s36, 0
	s_mov_b32 s38, -1
	s_waitcnt lgkmcnt(0)
	flat_load_b32 v9, v[52:53] glc
	s_waitcnt vmcnt(0) lgkmcnt(0)
	buffer_gl1_inv
	buffer_gl0_inv
	v_cmp_eq_u32_e32 vcc_lo, 0, v9
	s_and_b32 vcc_lo, vcc_lo, exec_lo
	s_delay_alu instid0(SALU_CYCLE_1)
	s_or_b32 s37, s37, vcc_lo
	s_branch .LBB4_276
.LBB4_281:                              ;   in Loop: Header=BB4_242 Depth=3
	s_or_b32 exec_lo, exec_lo, s31
	s_and_saveexec_b32 vcc_lo, s34
	s_delay_alu instid0(SALU_CYCLE_1)
	s_xor_b32 vcc_lo, exec_lo, vcc_lo
	s_cbranch_execz .LBB4_283
; %bb.282:                              ;   in Loop: Header=BB4_242 Depth=3
	ds_store_b32 v0, v119
	s_cbranch_execnz .LBB4_957
.LBB4_283:                              ;   in Loop: Header=BB4_242 Depth=3
	s_or_b32 exec_lo, exec_lo, s30
	;;#ASMSTART
	s_wakeup
	;;#ASMEND
.LBB4_284:                              ;   in Loop: Header=BB4_242 Depth=3
	s_or_b32 exec_lo, exec_lo, vcc_hi
.LBB4_285:                              ;   in Loop: Header=BB4_242 Depth=3
	s_and_not1_saveexec_b32 s29, s29
	s_cbranch_execz .LBB4_287
; %bb.286:                              ;   in Loop: Header=BB4_242 Depth=3
	s_waitcnt lgkmcnt(0)
	s_waitcnt_vscnt null, 0x0
	buffer_gl1_inv
	buffer_gl0_inv
	s_barrier
.LBB4_287:                              ;   in Loop: Header=BB4_242 Depth=3
	s_or_b32 exec_lo, exec_lo, s29
.LBB4_288:                              ;   in Loop: Header=BB4_242 Depth=3
	s_delay_alu instid0(SALU_CYCLE_1)
	s_or_b32 exec_lo, exec_lo, s11
	s_cbranch_execnz .LBB4_766
; %bb.289:                              ;   in Loop: Header=BB4_242 Depth=3
	ds_load_b32 v9, v0
	v_cmp_lt_i32_e32 vcc_lo, 0, v8
	s_waitcnt lgkmcnt(0)
	v_readfirstlane_b32 s11, v9
	v_and_b32_e32 v9, 16, v86
	s_delay_alu instid0(VALU_DEP_2) | instskip(NEXT) | instid1(VALU_DEP_1)
	s_cmp_eq_u32 s11, 0
	v_cmp_ne_u32_e64 s11, 0, v9
	s_cselect_b32 s29, -1, 0
	s_delay_alu instid0(SALU_CYCLE_1)
	s_and_b32 s29, vcc_lo, s29
	s_delay_alu instid0(VALU_DEP_1) | instid1(SALU_CYCLE_1)
	s_and_b32 s29, s11, s29
	s_delay_alu instid0(SALU_CYCLE_1)
	s_and_saveexec_b32 s11, s29
	s_cbranch_execz .LBB4_291
; %bb.290:                              ;   in Loop: Header=BB4_242 Depth=3
	s_waitcnt_vscnt null, 0x0
	buffer_gl1_inv
	buffer_gl0_inv
.LBB4_291:                              ;   in Loop: Header=BB4_242 Depth=3
	s_or_b32 exec_lo, exec_lo, s11
	s_delay_alu instid0(SALU_CYCLE_1)
	s_mov_b32 s11, exec_lo
	v_cmpx_ne_u32_e32 0, v9
	s_cbranch_execz .LBB4_295
; %bb.292:                              ;   in Loop: Header=BB4_242 Depth=3
	s_and_saveexec_b32 s29, s10
	s_cbranch_execz .LBB4_294
; %bb.293:                              ;   in Loop: Header=BB4_242 Depth=3
	s_waitcnt_vscnt null, 0x0
	flat_store_b32 v[24:25], v119
.LBB4_294:                              ;   in Loop: Header=BB4_242 Depth=3
	s_or_b32 exec_lo, exec_lo, s29
	v_add_co_u32 v18, vcc_lo, v18, 2
	v_add_co_ci_u32_e32 v19, vcc_lo, 0, v19, vcc_lo
	s_waitcnt lgkmcnt(0)
	s_waitcnt_vscnt null, 0x0
	flat_store_b64 v[16:17], v[18:19]
.LBB4_295:                              ;   in Loop: Header=BB4_242 Depth=3
	s_or_b32 exec_lo, exec_lo, s11
	v_add_nc_u32_e32 v64, v8, v64
	s_mov_b32 s11, 0
	s_and_not1_b32 exec_lo, exec_lo, s28
	s_cbranch_execnz .LBB4_242
; %bb.296:                              ;   in Loop: Header=BB4_101 Depth=2
	s_or_b32 exec_lo, exec_lo, s28
.LBB4_297:                              ;   in Loop: Header=BB4_101 Depth=2
	s_delay_alu instid0(SALU_CYCLE_1) | instskip(NEXT) | instid1(SALU_CYCLE_1)
	s_or_b32 exec_lo, exec_lo, s12
	s_and_not1_b32 vcc_lo, exec_lo, s26
	s_cbranch_vccnz .LBB4_505
; %bb.298:                              ;   in Loop: Header=BB4_101 Depth=2
	s_mov_b32 s28, 0
.LBB4_299:                              ;   Parent Loop BB4_65 Depth=1
                                        ;     Parent Loop BB4_101 Depth=2
                                        ; =>    This Loop Header: Depth=3
                                        ;         Child Loop BB4_301 Depth 4
                                        ;           Child Loop BB4_309 Depth 5
                                        ;           Child Loop BB4_341 Depth 5
                                        ;           Child Loop BB4_364 Depth 5
                                        ;           Child Loop BB4_387 Depth 5
                                        ;           Child Loop BB4_393 Depth 5
                                        ;           Child Loop BB4_403 Depth 5
                                        ;           Child Loop BB4_409 Depth 5
                                        ;           Child Loop BB4_421 Depth 5
                                        ;         Child Loop BB4_444 Depth 4
                                        ;           Child Loop BB4_450 Depth 5
                                        ;           Child Loop BB4_482 Depth 5
	v_dual_mov_b32 v9, 0 :: v_dual_mov_b32 v8, v67
	v_mov_b32_e32 v68, 0
	s_and_saveexec_b32 s29, s27
	s_cbranch_execz .LBB4_442
; %bb.300:                              ;   in Loop: Header=BB4_299 Depth=3
	v_mov_b32_e32 v68, 0
	v_mov_b32_e32 v8, v67
	s_mov_b32 s31, 1
	s_mov_b32 s30, -1
	s_mov_b32 vcc_hi, 0
.LBB4_301:                              ;   Parent Loop BB4_65 Depth=1
                                        ;     Parent Loop BB4_101 Depth=2
                                        ;       Parent Loop BB4_299 Depth=3
                                        ; =>      This Loop Header: Depth=4
                                        ;           Child Loop BB4_309 Depth 5
                                        ;           Child Loop BB4_341 Depth 5
	;; [unrolled: 1-line block ×8, first 2 shown]
	s_and_saveexec_b32 s11, s0
	s_cbranch_execz .LBB4_303
; %bb.302:                              ;   in Loop: Header=BB4_301 Depth=4
	v_mov_b32_e32 v27, v26
	ds_store_b64 v0, v[26:27]
	s_cbranch_execnz .LBB4_789
.LBB4_303:                              ;   in Loop: Header=BB4_301 Depth=4
	s_or_b32 exec_lo, exec_lo, s11
	v_and_b32_e32 v9, 12, v86
	s_mov_b32 s12, -1
	s_mov_b32 s11, exec_lo
	s_delay_alu instid0(VALU_DEP_1)
	v_cmpx_ne_u32_e32 0, v9
	s_cbranch_execz .LBB4_317
; %bb.304:                              ;   in Loop: Header=BB4_301 Depth=4
	v_and_b32_e32 v9, 8, v86
	v_mov_b32_e32 v27, 1
	s_mov_b32 s12, exec_lo
	s_delay_alu instid0(VALU_DEP_2) | instskip(SKIP_3) | instid1(VALU_DEP_1)
	v_add_co_u32 v54, vcc_lo, v22, v9
	v_add_co_ci_u32_e32 v55, vcc_lo, 0, v23, vcc_lo
	v_add_co_u32 v52, vcc_lo, v18, 2
	v_add_co_ci_u32_e32 v53, vcc_lo, 0, v19, vcc_lo
	v_cmpx_lt_u64_e64 v[54:55], v[52:53]
	s_cbranch_execz .LBB4_316
; %bb.305:                              ;   in Loop: Header=BB4_301 Depth=4
	v_mov_b32_e32 v27, 0
	s_mov_b32 s34, 0
                                        ; implicit-def: $sgpr35
	s_branch .LBB4_309
.LBB4_306:                              ;   in Loop: Header=BB4_309 Depth=5
	s_or_b32 exec_lo, exec_lo, s39
	v_mov_b32_e32 v54, 0
	s_or_not1_b32 s38, s38, exec_lo
.LBB4_307:                              ;   in Loop: Header=BB4_309 Depth=5
	s_or_b32 exec_lo, exec_lo, s37
	s_delay_alu instid0(VALU_DEP_1) | instskip(SKIP_2) | instid1(SALU_CYCLE_1)
	v_mov_b32_e32 v27, v54
	s_and_not1_b32 vcc_lo, s35, exec_lo
	s_and_b32 s35, s38, exec_lo
	s_or_b32 s35, vcc_lo, s35
.LBB4_308:                              ;   in Loop: Header=BB4_309 Depth=5
	s_or_b32 exec_lo, exec_lo, s36
	s_waitcnt vmcnt(0) lgkmcnt(0)
	v_add_co_u32 v54, vcc_lo, v22, v9
	v_add_co_ci_u32_e32 v55, vcc_lo, 0, v23, vcc_lo
	s_xor_b32 s36, s35, -1
	s_delay_alu instid0(VALU_DEP_1) | instskip(SKIP_1) | instid1(SALU_CYCLE_1)
	v_cmp_ge_u64_e32 vcc_lo, v[54:55], v[52:53]
	s_or_b32 vcc_lo, s36, vcc_lo
	s_and_b32 vcc_lo, exec_lo, vcc_lo
	s_delay_alu instid0(SALU_CYCLE_1) | instskip(NEXT) | instid1(SALU_CYCLE_1)
	s_or_b32 s34, vcc_lo, s34
	s_and_not1_b32 exec_lo, exec_lo, s34
	s_cbranch_execz .LBB4_315
.LBB4_309:                              ;   Parent Loop BB4_65 Depth=1
                                        ;     Parent Loop BB4_101 Depth=2
                                        ;       Parent Loop BB4_299 Depth=3
                                        ;         Parent Loop BB4_301 Depth=4
                                        ; =>        This Inner Loop Header: Depth=5
	s_sleep 1
	flat_load_b64 v[22:23], v[16:17] glc
	v_and_b32_e32 v54, 64, v86
	s_and_not1_b32 s35, s35, exec_lo
	s_mov_b32 s36, exec_lo
	s_delay_alu instid0(VALU_DEP_1)
	v_cmpx_eq_u32_e32 0, v54
	s_cbranch_execz .LBB4_308
; %bb.310:                              ;   in Loop: Header=BB4_309 Depth=5
	v_add_nc_u32_e32 v54, 1, v27
	s_mov_b32 s38, -1
	s_mov_b32 s37, exec_lo
	v_cmpx_lt_i32_e32 0x270e, v27
	s_cbranch_execz .LBB4_307
; %bb.311:                              ;   in Loop: Header=BB4_309 Depth=5
	s_cbranch_execnz .LBB4_811
; %bb.312:                              ;   in Loop: Header=BB4_309 Depth=5
	ds_load_b64 v[54:55], v0
	s_mov_b32 s39, exec_lo
	s_waitcnt vmcnt(0) lgkmcnt(0)
	s_waitcnt_vscnt null, 0x0
	flat_load_b32 v27, v[54:55] glc
	s_waitcnt vmcnt(0) lgkmcnt(0)
	buffer_gl1_inv
	buffer_gl0_inv
	v_cmpx_ne_u32_e32 0, v27
	s_cbranch_execz .LBB4_306
; %bb.313:                              ;   in Loop: Header=BB4_309 Depth=5
	ds_store_b32 v0, v27
	s_cbranch_execnz .LBB4_845
; %bb.314:                              ;   in Loop: Header=BB4_309 Depth=5
	v_or_b32_e32 v86, 64, v86
	s_xor_b32 s38, exec_lo, -1
	s_branch .LBB4_306
.LBB4_315:                              ;   in Loop: Header=BB4_301 Depth=4
	s_or_b32 exec_lo, exec_lo, s34
	v_and_b32_e32 v27, 12, v86
.LBB4_316:                              ;   in Loop: Header=BB4_301 Depth=4
	s_or_b32 exec_lo, exec_lo, s12
	s_delay_alu instid0(VALU_DEP_1)
	v_cmp_eq_u32_e32 vcc_lo, 0, v27
	;;#ASMSTART
	s_wakeup
	;;#ASMEND
	s_or_not1_b32 s12, vcc_lo, exec_lo
.LBB4_317:                              ;   in Loop: Header=BB4_301 Depth=4
	s_or_b32 exec_lo, exec_lo, s11
	v_sub_nc_u32_e32 v9, v66, v68
	s_xor_b32 s11, s12, -1
	s_delay_alu instid0(VALU_DEP_1)
	v_min_i32_e32 v8, v8, v9
	s_and_saveexec_b32 s12, s11
	s_cbranch_execz .LBB4_332
; %bb.318:                              ;   in Loop: Header=BB4_301 Depth=4
	v_and_b32_e32 v9, 0x108, v86
	s_mov_b32 s11, exec_lo
                                        ; implicit-def: $vgpr52_vgpr53
	s_delay_alu instid0(VALU_DEP_1)
	v_cmpx_ne_u32_e32 0x108, v9
	s_xor_b32 s11, exec_lo, s11
; %bb.319:                              ;   in Loop: Header=BB4_301 Depth=4
	v_dual_mov_b32 v53, v26 :: v_dual_and_b32 v52, 7, v18
; %bb.320:                              ;   in Loop: Header=BB4_301 Depth=4
	s_and_not1_saveexec_b32 s11, s11
	s_cbranch_execz .LBB4_322
; %bb.321:                              ;   in Loop: Header=BB4_301 Depth=4
	v_dual_mov_b32 v53, v26 :: v_dual_and_b32 v52, 7, v18
	v_ashrrev_i32_e32 v9, 31, v8
	s_delay_alu instid0(VALU_DEP_2)
	v_mad_u64_u32 v[54:55], null, v52, 24, v[4:5]
	flat_store_b64 v[54:55], v[8:9] offset:8
.LBB4_322:                              ;   in Loop: Header=BB4_301 Depth=4
	s_or_b32 exec_lo, exec_lo, s11
	v_and_b32_e32 v9, 0x100, v86
	s_mov_b32 s11, -1
	s_mov_b32 s34, exec_lo
                                        ; implicit-def: $vgpr54_vgpr55
	s_delay_alu instid0(VALU_DEP_1)
	v_cmpx_ne_u32_e32 0, v9
	s_cbranch_execnz .LBB4_325
; %bb.323:                              ;   in Loop: Header=BB4_301 Depth=4
	s_or_b32 exec_lo, exec_lo, s34
	s_and_saveexec_b32 vcc_lo, s11
	s_cbranch_execnz .LBB4_328
.LBB4_324:                              ;   in Loop: Header=BB4_301 Depth=4
	s_or_b32 exec_lo, exec_lo, vcc_lo
	s_cbranch_execnz .LBB4_809
	s_branch .LBB4_329
.LBB4_325:                              ;   in Loop: Header=BB4_301 Depth=4
	v_mad_u64_u32 v[64:65], null, v52, 24, v[4:5]
	s_mov_b32 s35, exec_lo
	s_delay_alu instid0(VALU_DEP_1) | instskip(NEXT) | instid1(VALU_DEP_1)
	v_mov_b32_e32 v9, v65
	v_mad_u64_u32 v[54:55], null, v53, 24, v[9:10]
	s_delay_alu instid0(VALU_DEP_1)
	v_mov_b32_e32 v65, v54
                                        ; implicit-def: $vgpr54_vgpr55
	flat_load_b32 v9, v[64:65]
	s_waitcnt vmcnt(0) lgkmcnt(0)
	v_cmp_ne_u32_e32 vcc_lo, 1, v9
	v_cmpx_eq_u32_e32 1, v9
	s_cbranch_execz .LBB4_327
; %bb.326:                              ;   in Loop: Header=BB4_301 Depth=4
	flat_load_b32 v54, v[64:65] offset:4 glc
	s_waitcnt vmcnt(0) lgkmcnt(0)
	v_ashrrev_i32_e32 v55, 31, v54
.LBB4_327:                              ;   in Loop: Header=BB4_301 Depth=4
	s_or_b32 exec_lo, exec_lo, s35
	s_delay_alu instid0(SALU_CYCLE_1)
	s_or_not1_b32 s11, vcc_lo, exec_lo
	s_or_b32 exec_lo, exec_lo, s34
	s_and_saveexec_b32 vcc_lo, s11
	s_cbranch_execz .LBB4_324
.LBB4_328:                              ;   in Loop: Header=BB4_301 Depth=4
	v_mul_lo_u32 v9, v53, v87
	v_mul_lo_u32 v27, v52, v116
	v_mad_u64_u32 v[54:55], null, v52, v87, 0
	s_delay_alu instid0(VALU_DEP_1)
	v_add3_u32 v55, v55, v27, v9
	s_or_b32 exec_lo, exec_lo, vcc_lo
	s_cbranch_execnz .LBB4_809
.LBB4_329:                              ;   in Loop: Header=BB4_301 Depth=4
	s_delay_alu instid0(VALU_DEP_2)
	v_add_co_u32 v52, vcc_lo, v20, v54
	v_and_b32_e32 v9, 0x2000, v86
	v_add_co_ci_u32_e32 v53, vcc_lo, v21, v55, vcc_lo
	s_mov_b32 s11, exec_lo
	ds_store_b64 v0, v[52:53]
	v_cmpx_ne_u32_e32 0, v9
	s_cbranch_execz .LBB4_331
; %bb.330:                              ;   in Loop: Header=BB4_301 Depth=4
	ds_load_b64 v[52:53], v0 offset:584
	s_waitcnt lgkmcnt(0)
	v_add_co_u32 v52, vcc_lo, v52, 1
	v_add_co_ci_u32_e32 v53, vcc_lo, 0, v53, vcc_lo
	ds_store_b64 v0, v[52:53] offset:584
.LBB4_331:                              ;   in Loop: Header=BB4_301 Depth=4
	s_or_b32 exec_lo, exec_lo, s11
	v_add_co_u32 v18, vcc_lo, v18, 2
	v_add_co_ci_u32_e32 v19, vcc_lo, 0, v19, vcc_lo
.LBB4_332:                              ;   in Loop: Header=BB4_301 Depth=4
	s_or_b32 exec_lo, exec_lo, s12
	s_and_saveexec_b32 s11, s4
	s_cbranch_execz .LBB4_354
; %bb.333:                              ;   in Loop: Header=BB4_301 Depth=4
	s_and_saveexec_b32 s12, s5
	s_delay_alu instid0(SALU_CYCLE_1)
	s_xor_b32 s12, exec_lo, s12
	s_cbranch_execz .LBB4_351
; %bb.334:                              ;   in Loop: Header=BB4_301 Depth=4
	s_and_saveexec_b32 s34, s2
	s_cbranch_execz .LBB4_350
; %bb.335:                              ;   in Loop: Header=BB4_301 Depth=4
	s_mov_b32 s36, exec_lo
	s_mov_b32 s35, exec_lo
	v_mbcnt_lo_u32_b32 v9, s36, 0
	s_waitcnt lgkmcnt(0)
	s_waitcnt_vscnt null, 0x0
	buffer_gl1_inv
	buffer_gl0_inv
	v_cmpx_eq_u32_e32 0, v9
	s_cbranch_execz .LBB4_337
; %bb.336:                              ;   in Loop: Header=BB4_301 Depth=4
	s_bcnt1_i32_b32 vcc_lo, s36
	s_delay_alu instid0(SALU_CYCLE_1)
	v_dual_mov_b32 v53, v26 :: v_dual_mov_b32 v52, vcc_lo
	ds_add_u64 v0, v[52:53]
	s_cbranch_execnz .LBB4_883
.LBB4_337:                              ;   in Loop: Header=BB4_301 Depth=4
	s_or_b32 exec_lo, exec_lo, s35
	s_cbranch_execnz .LBB4_867
; %bb.338:                              ;   in Loop: Header=BB4_301 Depth=4
	ds_load_b64 v[52:53], v0
	v_add_co_u32 v10, vcc_lo, v10, v98
	v_add_co_ci_u32_e32 v11, vcc_lo, 0, v11, vcc_lo
	s_mov_b32 s35, exec_lo
	s_waitcnt lgkmcnt(0)
	s_delay_alu instid0(VALU_DEP_1)
	v_cmpx_lt_u64_e64 v[52:53], v[10:11]
	s_cbranch_execz .LBB4_349
; %bb.339:                              ;   in Loop: Header=BB4_301 Depth=4
	s_mov_b32 s36, 0
	s_mov_b32 s39, 0
                                        ; implicit-def: $sgpr37
                                        ; implicit-def: $sgpr38
	s_branch .LBB4_341
.LBB4_340:                              ;   in Loop: Header=BB4_341 Depth=5
	s_or_b32 exec_lo, exec_lo, s41
	s_delay_alu instid0(SALU_CYCLE_1) | instskip(NEXT) | instid1(SALU_CYCLE_1)
	s_and_b32 vcc_lo, exec_lo, vcc_lo
	s_or_b32 s36, vcc_lo, s36
	s_and_not1_b32 vcc_lo, s37, exec_lo
	s_and_b32 s37, s38, exec_lo
	s_delay_alu instid0(SALU_CYCLE_1)
	s_or_b32 s37, vcc_lo, s37
	s_and_not1_b32 exec_lo, exec_lo, s36
	s_cbranch_execz .LBB4_347
.LBB4_341:                              ;   Parent Loop BB4_65 Depth=1
                                        ;     Parent Loop BB4_101 Depth=2
                                        ;       Parent Loop BB4_299 Depth=3
                                        ;         Parent Loop BB4_301 Depth=4
                                        ; =>        This Inner Loop Header: Depth=5
	s_add_i32 s39, s39, 1
                                        ; implicit-def: $sgpr41
	s_delay_alu instid0(SALU_CYCLE_1) | instskip(SKIP_1) | instid1(SALU_CYCLE_1)
	s_cmpk_lg_i32 s39, 0x2710
	s_cselect_b32 s40, -1, 0
	s_and_b32 vcc_lo, exec_lo, s40
	s_cbranch_vccz .LBB4_345
.LBB4_342:                              ;   in Loop: Header=BB4_341 Depth=5
	s_and_not1_b32 s38, s38, exec_lo
	s_and_b32 s41, s41, exec_lo
	s_mov_b32 vcc_lo, -1
	s_or_b32 s38, s38, s41
	s_and_saveexec_b32 s41, s40
	s_cbranch_execz .LBB4_340
; %bb.343:                              ;   in Loop: Header=BB4_341 Depth=5
	s_sleep 1
	s_cbranch_execnz .LBB4_907
; %bb.344:                              ;   in Loop: Header=BB4_341 Depth=5
	ds_load_b64 v[52:53], v0
	s_and_not1_b32 s38, s38, exec_lo
	s_waitcnt lgkmcnt(0)
	v_cmp_ge_u64_e32 vcc_lo, v[52:53], v[10:11]
	s_or_not1_b32 vcc_lo, vcc_lo, exec_lo
	s_branch .LBB4_340
.LBB4_345:                              ;   in Loop: Header=BB4_341 Depth=5
	s_cbranch_execnz .LBB4_919
; %bb.346:                              ;   in Loop: Header=BB4_341 Depth=5
	ds_load_b64 v[52:53], v0
	s_and_not1_b32 s40, s40, exec_lo
	s_mov_b32 s39, 0
	s_mov_b32 s41, -1
	s_waitcnt lgkmcnt(0)
	flat_load_b32 v9, v[52:53] glc
	s_waitcnt vmcnt(0) lgkmcnt(0)
	buffer_gl1_inv
	buffer_gl0_inv
	v_cmp_eq_u32_e32 vcc_lo, 0, v9
	s_and_b32 vcc_lo, vcc_lo, exec_lo
	s_delay_alu instid0(SALU_CYCLE_1)
	s_or_b32 s40, s40, vcc_lo
	s_branch .LBB4_342
.LBB4_347:                              ;   in Loop: Header=BB4_301 Depth=4
	s_or_b32 exec_lo, exec_lo, s36
	s_and_saveexec_b32 vcc_lo, s37
	s_delay_alu instid0(SALU_CYCLE_1)
	s_xor_b32 vcc_lo, exec_lo, vcc_lo
	s_cbranch_execz .LBB4_349
; %bb.348:                              ;   in Loop: Header=BB4_301 Depth=4
	ds_store_b32 v0, v119
	s_cbranch_execnz .LBB4_971
.LBB4_349:                              ;   in Loop: Header=BB4_301 Depth=4
	s_or_b32 exec_lo, exec_lo, s35
	;;#ASMSTART
	s_wakeup
	;;#ASMEND
.LBB4_350:                              ;   in Loop: Header=BB4_301 Depth=4
	s_or_b32 exec_lo, exec_lo, s34
.LBB4_351:                              ;   in Loop: Header=BB4_301 Depth=4
	s_and_not1_saveexec_b32 s12, s12
	s_cbranch_execz .LBB4_353
; %bb.352:                              ;   in Loop: Header=BB4_301 Depth=4
	s_waitcnt lgkmcnt(0)
	s_waitcnt_vscnt null, 0x0
	buffer_gl1_inv
	buffer_gl0_inv
	s_barrier
.LBB4_353:                              ;   in Loop: Header=BB4_301 Depth=4
	s_or_b32 exec_lo, exec_lo, s12
.LBB4_354:                              ;   in Loop: Header=BB4_301 Depth=4
	s_delay_alu instid0(SALU_CYCLE_1)
	s_or_b32 exec_lo, exec_lo, s11
	s_cbranch_execnz .LBB4_793
; %bb.355:                              ;   in Loop: Header=BB4_301 Depth=4
	ds_load_b32 v27, v0
	v_and_b32_e32 v9, 0x4000, v86
	s_xor_b32 s11, s3, -1
	s_delay_alu instid0(VALU_DEP_1) | instskip(SKIP_1) | instid1(SALU_CYCLE_1)
	v_cmp_ne_u32_e32 vcc_lo, 0, v9
	s_and_b32 s12, s11, vcc_lo
	s_and_saveexec_b32 s11, s12
	s_cbranch_execz .LBB4_377
; %bb.356:                              ;   in Loop: Header=BB4_301 Depth=4
	s_and_saveexec_b32 s12, s5
	s_delay_alu instid0(SALU_CYCLE_1)
	s_xor_b32 s12, exec_lo, s12
	s_cbranch_execz .LBB4_374
; %bb.357:                              ;   in Loop: Header=BB4_301 Depth=4
	s_and_saveexec_b32 s34, s2
	s_cbranch_execz .LBB4_373
; %bb.358:                              ;   in Loop: Header=BB4_301 Depth=4
	s_mov_b32 s36, exec_lo
	s_mov_b32 s35, exec_lo
	v_mbcnt_lo_u32_b32 v9, s36, 0
	s_waitcnt lgkmcnt(0)
	s_waitcnt_vscnt null, 0x0
	buffer_gl1_inv
	buffer_gl0_inv
	v_cmpx_eq_u32_e32 0, v9
	s_cbranch_execz .LBB4_360
; %bb.359:                              ;   in Loop: Header=BB4_301 Depth=4
	s_bcnt1_i32_b32 vcc_lo, s36
	s_delay_alu instid0(SALU_CYCLE_1)
	v_dual_mov_b32 v53, v26 :: v_dual_mov_b32 v52, vcc_lo
	ds_add_u64 v0, v[52:53]
	s_cbranch_execnz .LBB4_901
.LBB4_360:                              ;   in Loop: Header=BB4_301 Depth=4
	s_or_b32 exec_lo, exec_lo, s35
	s_cbranch_execnz .LBB4_893
; %bb.361:                              ;   in Loop: Header=BB4_301 Depth=4
	ds_load_b64 v[52:53], v0
	v_add_co_u32 v10, vcc_lo, v10, v98
	v_add_co_ci_u32_e32 v11, vcc_lo, 0, v11, vcc_lo
	s_mov_b32 s35, exec_lo
	s_waitcnt lgkmcnt(0)
	s_delay_alu instid0(VALU_DEP_1)
	v_cmpx_lt_u64_e64 v[52:53], v[10:11]
	s_cbranch_execz .LBB4_372
; %bb.362:                              ;   in Loop: Header=BB4_301 Depth=4
	s_mov_b32 s36, 0
	s_mov_b32 s39, 0
                                        ; implicit-def: $sgpr37
                                        ; implicit-def: $sgpr38
	s_branch .LBB4_364
.LBB4_363:                              ;   in Loop: Header=BB4_364 Depth=5
	s_or_b32 exec_lo, exec_lo, s41
	s_delay_alu instid0(SALU_CYCLE_1) | instskip(NEXT) | instid1(SALU_CYCLE_1)
	s_and_b32 vcc_lo, exec_lo, vcc_lo
	s_or_b32 s36, vcc_lo, s36
	s_and_not1_b32 vcc_lo, s37, exec_lo
	s_and_b32 s37, s38, exec_lo
	s_delay_alu instid0(SALU_CYCLE_1)
	s_or_b32 s37, vcc_lo, s37
	s_and_not1_b32 exec_lo, exec_lo, s36
	s_cbranch_execz .LBB4_370
.LBB4_364:                              ;   Parent Loop BB4_65 Depth=1
                                        ;     Parent Loop BB4_101 Depth=2
                                        ;       Parent Loop BB4_299 Depth=3
                                        ;         Parent Loop BB4_301 Depth=4
                                        ; =>        This Inner Loop Header: Depth=5
	s_add_i32 s39, s39, 1
                                        ; implicit-def: $sgpr41
	s_delay_alu instid0(SALU_CYCLE_1) | instskip(SKIP_1) | instid1(SALU_CYCLE_1)
	s_cmpk_lg_i32 s39, 0x2710
	s_cselect_b32 s40, -1, 0
	s_and_b32 vcc_lo, exec_lo, s40
	s_cbranch_vccz .LBB4_368
.LBB4_365:                              ;   in Loop: Header=BB4_364 Depth=5
	s_and_not1_b32 s38, s38, exec_lo
	s_and_b32 s41, s41, exec_lo
	s_mov_b32 vcc_lo, -1
	s_or_b32 s38, s38, s41
	s_and_saveexec_b32 s41, s40
	s_cbranch_execz .LBB4_363
; %bb.366:                              ;   in Loop: Header=BB4_364 Depth=5
	s_sleep 1
	s_cbranch_execnz .LBB4_937
; %bb.367:                              ;   in Loop: Header=BB4_364 Depth=5
	ds_load_b64 v[52:53], v0
	s_and_not1_b32 s38, s38, exec_lo
	s_waitcnt lgkmcnt(0)
	v_cmp_ge_u64_e32 vcc_lo, v[52:53], v[10:11]
	s_or_not1_b32 vcc_lo, vcc_lo, exec_lo
	s_branch .LBB4_363
.LBB4_368:                              ;   in Loop: Header=BB4_364 Depth=5
	s_cbranch_execnz .LBB4_943
; %bb.369:                              ;   in Loop: Header=BB4_364 Depth=5
	ds_load_b64 v[52:53], v0
	s_and_not1_b32 s40, s40, exec_lo
	s_mov_b32 s39, 0
	s_mov_b32 s41, -1
	s_waitcnt lgkmcnt(0)
	flat_load_b32 v9, v[52:53] glc
	s_waitcnt vmcnt(0) lgkmcnt(0)
	buffer_gl1_inv
	buffer_gl0_inv
	v_cmp_eq_u32_e32 vcc_lo, 0, v9
	s_and_b32 vcc_lo, vcc_lo, exec_lo
	s_delay_alu instid0(SALU_CYCLE_1)
	s_or_b32 s40, s40, vcc_lo
	s_branch .LBB4_365
.LBB4_370:                              ;   in Loop: Header=BB4_301 Depth=4
	s_or_b32 exec_lo, exec_lo, s36
	s_and_saveexec_b32 vcc_lo, s37
	s_delay_alu instid0(SALU_CYCLE_1)
	s_xor_b32 vcc_lo, exec_lo, vcc_lo
	s_cbranch_execz .LBB4_372
; %bb.371:                              ;   in Loop: Header=BB4_301 Depth=4
	ds_store_b32 v0, v119
	s_cbranch_execnz .LBB4_979
.LBB4_372:                              ;   in Loop: Header=BB4_301 Depth=4
	s_or_b32 exec_lo, exec_lo, s35
	;;#ASMSTART
	s_wakeup
	;;#ASMEND
.LBB4_373:                              ;   in Loop: Header=BB4_301 Depth=4
	s_or_b32 exec_lo, exec_lo, s34
.LBB4_374:                              ;   in Loop: Header=BB4_301 Depth=4
	s_and_not1_saveexec_b32 s12, s12
	s_cbranch_execz .LBB4_376
; %bb.375:                              ;   in Loop: Header=BB4_301 Depth=4
	s_waitcnt lgkmcnt(0)
	s_waitcnt_vscnt null, 0x0
	buffer_gl1_inv
	buffer_gl0_inv
	s_barrier
.LBB4_376:                              ;   in Loop: Header=BB4_301 Depth=4
	s_or_b32 exec_lo, exec_lo, s12
.LBB4_377:                              ;   in Loop: Header=BB4_301 Depth=4
	s_delay_alu instid0(SALU_CYCLE_1)
	s_or_b32 exec_lo, exec_lo, s11
	s_cbranch_execnz .LBB4_827
; %bb.378:                              ;   in Loop: Header=BB4_301 Depth=4
	ds_load_b64 v[52:53], v0
	v_mov_b32_e32 v9, 0
	s_waitcnt lgkmcnt(0)
	v_cmp_eq_u64_e32 vcc_lo, 0, v[52:53]
	s_or_b32 s11, vcc_lo, vcc_lo
	s_delay_alu instid0(SALU_CYCLE_1)
	s_and_b32 vcc_lo, exec_lo, s11
	s_cbranch_vccnz .LBB4_412
; %bb.379:                              ;   in Loop: Header=BB4_301 Depth=4
	s_mov_b32 s11, -1
	s_and_saveexec_b32 s12, s6
	s_cbranch_execz .LBB4_381
; %bb.380:                              ;   in Loop: Header=BB4_301 Depth=4
	ds_load_b32 v9, v0 offset:720
	s_waitcnt lgkmcnt(0)
	v_and_b32_e32 v9, 15, v9
	s_delay_alu instid0(VALU_DEP_1)
	v_cmp_eq_u32_e32 vcc_lo, 0, v9
	s_or_not1_b32 s11, vcc_lo, exec_lo
.LBB4_381:                              ;   in Loop: Header=BB4_301 Depth=4
	s_or_b32 exec_lo, exec_lo, s12
	s_and_saveexec_b32 s12, s6
	s_cbranch_execz .LBB4_383
; %bb.382:                              ;   in Loop: Header=BB4_301 Depth=4
	ds_load_b32 v9, v0 offset:784
	s_waitcnt lgkmcnt(0)
	v_and_b32_e32 v9, 15, v9
	s_delay_alu instid0(VALU_DEP_1) | instskip(SKIP_3) | instid1(SALU_CYCLE_1)
	v_cmp_eq_u32_e32 vcc_lo, 0, v9
	s_and_b32 vcc_lo, s11, vcc_lo
	s_and_not1_b32 s11, s11, exec_lo
	s_and_b32 vcc_lo, vcc_lo, exec_lo
	s_or_b32 s11, s11, vcc_lo
.LBB4_383:                              ;   in Loop: Header=BB4_301 Depth=4
	s_or_b32 exec_lo, exec_lo, s12
	v_cmp_eq_u32_e32 vcc_lo, 0, v27
	s_xor_b32 s11, s11, -1
	v_mov_b32_e32 v65, v0
	v_cndmask_b32_e64 v52, 0, 1, s11
	;;#ASMSTART
	;;#ASMEND
	v_cndmask_b32_e32 v9, 0, v8, vcc_lo
	s_delay_alu instid0(VALU_DEP_2)
	v_cmp_ne_u32_e32 vcc_lo, 0, v52
	v_mov_b32_e32 v27, 0
	v_mov_b32_e32 v71, v35
	s_mov_b32 s11, -1
	v_mov_b32_e32 v64, v9
	s_cbranch_vccnz .LBB4_399
; %bb.384:                              ;   in Loop: Header=BB4_301 Depth=4
	v_ashrrev_i32_e32 v27, 31, v9
	s_mov_b32 s12, exec_lo
	s_delay_alu instid0(VALU_DEP_1) | instskip(NEXT) | instid1(VALU_DEP_1)
	v_lshrrev_b32_e32 v27, 21, v27
	v_add_nc_u32_e32 v27, v9, v27
	s_delay_alu instid0(VALU_DEP_1) | instskip(NEXT) | instid1(VALU_DEP_1)
	v_ashrrev_i32_e32 v27, 11, v27
	v_sub_nc_u32_e32 v69, v27, v35
	s_delay_alu instid0(VALU_DEP_1)
	v_cmpx_lt_i32_e32 0, v69
	s_cbranch_execz .LBB4_389
; %bb.385:                              ;   in Loop: Header=BB4_301 Depth=4
	s_cbranch_execnz .LBB4_925
; %bb.386:                              ;   in Loop: Header=BB4_301 Depth=4
	ds_load_b64 v[52:53], v0
	s_mov_b32 s34, 0
	s_waitcnt lgkmcnt(0)
	v_dual_mov_b32 v55, v53 :: v_dual_mov_b32 v54, v52
	s_set_inst_prefetch_distance 0x1
.LBB4_387:                              ;   Parent Loop BB4_65 Depth=1
                                        ;     Parent Loop BB4_101 Depth=2
                                        ;       Parent Loop BB4_299 Depth=3
                                        ;         Parent Loop BB4_301 Depth=4
                                        ; =>        This Inner Loop Header: Depth=5
	s_delay_alu instid0(VALU_DEP_1) | instskip(NEXT) | instid1(VALU_DEP_2)
	v_add_co_u32 v64, vcc_lo, v99, v54
	v_add_co_ci_u32_e32 v65, vcc_lo, v101, v55, vcc_lo
	v_sub_nc_u32_e32 v69, v69, v98
	s_clause 0x3
	global_load_b128 v[80:83], v[64:65], off slc dlc
	global_load_b128 v[132:135], v[64:65], off offset:512 slc dlc
	global_load_b128 v[144:147], v[64:65], off offset:1024 slc dlc
	;; [unrolled: 1-line block ×3, first 2 shown]
	v_add_co_u32 v64, vcc_lo, v99, v52
	v_add_co_ci_u32_e32 v65, vcc_lo, v101, v53, vcc_lo
	v_add_co_u32 v54, vcc_lo, v54, v102
	v_add_co_ci_u32_e32 v55, vcc_lo, v55, v103, vcc_lo
	v_add_co_u32 v52, vcc_lo, v52, v102
	v_cmp_gt_i32_e64 s11, 1, v69
	v_add_co_ci_u32_e32 v53, vcc_lo, v53, v103, vcc_lo
	s_waitcnt vmcnt(3)
	global_store_b128 v[64:65], v[80:83], off glc slc dlc
	s_waitcnt vmcnt(2)
	global_store_b128 v[64:65], v[132:135], off offset:512 glc slc dlc
	s_waitcnt vmcnt(1)
	global_store_b128 v[64:65], v[144:147], off offset:1024 glc slc dlc
	;; [unrolled: 2-line block ×3, first 2 shown]
	s_or_b32 s34, s11, s34
	s_delay_alu instid0(SALU_CYCLE_1)
	s_and_not1_b32 exec_lo, exec_lo, s34
	s_cbranch_execnz .LBB4_387
; %bb.388:                              ;   in Loop: Header=BB4_301 Depth=4
	s_set_inst_prefetch_distance 0x2
	s_or_b32 exec_lo, exec_lo, s34
.LBB4_389:                              ;   in Loop: Header=BB4_301 Depth=4
	s_delay_alu instid0(SALU_CYCLE_1) | instskip(SKIP_3) | instid1(VALU_DEP_1)
	s_or_b32 exec_lo, exec_lo, s12
	v_dual_mov_b32 v27, 0 :: v_dual_lshlrev_b32 v54, 11, v27
	s_mov_b32 s11, 0
	s_mov_b32 s34, exec_lo
                                        ; implicit-def: $vgpr64
                                        ; implicit-def: $vgpr65
                                        ; implicit-def: $vgpr71
	v_cmpx_ne_u32_e64 v9, v54
	s_cbranch_execz .LBB4_398
; %bb.390:                              ;   in Loop: Header=BB4_301 Depth=4
	v_lshlrev_b32_e32 v27, 5, v69
	v_sub_nc_u32_e32 v53, v9, v54
	s_mov_b32 s35, exec_lo
	s_delay_alu instid0(VALU_DEP_2) | instskip(NEXT) | instid1(VALU_DEP_2)
	v_sub_nc_u32_e32 v27, v96, v27
	v_ashrrev_i32_e32 v55, 31, v53
	s_delay_alu instid0(VALU_DEP_2) | instskip(NEXT) | instid1(VALU_DEP_2)
	v_ashrrev_i32_e32 v52, 31, v27
	v_lshrrev_b32_e32 v55, 23, v55
	s_delay_alu instid0(VALU_DEP_2) | instskip(NEXT) | instid1(VALU_DEP_2)
	v_lshrrev_b32_e32 v52, 27, v52
	v_add_nc_u32_e32 v65, v53, v55
	s_delay_alu instid0(VALU_DEP_2) | instskip(NEXT) | instid1(VALU_DEP_2)
	v_add_nc_u32_e32 v52, v27, v52
	v_and_b32_e32 v55, 0xfffffe00, v65
	v_ashrrev_i32_e32 v65, 9, v65
	s_delay_alu instid0(VALU_DEP_3) | instskip(NEXT) | instid1(VALU_DEP_3)
	v_and_b32_e32 v64, 0xffffffe0, v52
	v_sub_nc_u32_e32 v70, v53, v55
	v_ashrrev_i32_e32 v52, 5, v52
	s_delay_alu instid0(VALU_DEP_3) | instskip(NEXT) | instid1(VALU_DEP_3)
	v_sub_nc_u32_e32 v69, v27, v64
	v_cmp_lt_i32_e32 vcc_lo, 15, v70
	s_delay_alu instid0(VALU_DEP_2) | instskip(SKIP_1) | instid1(VALU_DEP_2)
	v_lshlrev_b32_e32 v27, 4, v69
	v_add_co_ci_u32_e64 v65, s11, 0, v65, vcc_lo
	v_lshl_add_u32 v64, v52, 9, v27
	s_delay_alu instid0(VALU_DEP_2) | instskip(NEXT) | instid1(VALU_DEP_2)
	v_sub_nc_u32_e32 v80, v65, v52
	v_sub_nc_u32_e32 v27, v53, v64
	s_delay_alu instid0(VALU_DEP_1)
	v_cmpx_lt_i32_e32 15, v27
	s_cbranch_execz .LBB4_395
; %bb.391:                              ;   in Loop: Header=BB4_301 Depth=4
	s_cbranch_execnz .LBB4_951
; %bb.392:                              ;   in Loop: Header=BB4_301 Depth=4
	ds_load_b64 v[52:53], v0
	v_add_nc_u32_e32 v64, v64, v54
	s_mov_b32 s36, 0
	s_delay_alu instid0(VALU_DEP_1)
	v_ashrrev_i32_e32 v65, 31, v64
.LBB4_393:                              ;   Parent Loop BB4_65 Depth=1
                                        ;     Parent Loop BB4_101 Depth=2
                                        ;       Parent Loop BB4_299 Depth=3
                                        ;         Parent Loop BB4_301 Depth=4
                                        ; =>        This Inner Loop Header: Depth=5
	s_waitcnt lgkmcnt(0)
	v_add_co_u32 v132, s11, v52, v64
	s_delay_alu instid0(VALU_DEP_1)
	v_add_co_ci_u32_e64 v133, s11, v53, v65, s11
	v_sub_nc_u32_e32 v27, v27, v100
	v_add_co_u32 v64, s12, v64, v112
	global_load_b128 v[81:84], v[132:133], off slc dlc
	v_sub_nc_u32_e32 v80, v80, v98
	v_cmp_gt_i32_e64 s11, 16, v27
	v_add_co_ci_u32_e64 v65, s12, v65, v113, s12
	s_delay_alu instid0(VALU_DEP_2)
	s_or_b32 s36, s11, s36
	s_waitcnt vmcnt(0)
	global_store_b128 v[132:133], v[81:84], off glc slc dlc
	s_and_not1_b32 exec_lo, exec_lo, s36
	s_cbranch_execnz .LBB4_393
; %bb.394:                              ;   in Loop: Header=BB4_301 Depth=4
	s_or_b32 exec_lo, exec_lo, s36
.LBB4_395:                              ;   in Loop: Header=BB4_301 Depth=4
	s_delay_alu instid0(SALU_CYCLE_1) | instskip(SKIP_3) | instid1(VALU_DEP_1)
	s_or_b32 exec_lo, exec_lo, s35
	v_dual_mov_b32 v27, 0 :: v_dual_and_b32 v52, 15, v9
	s_mov_b32 s12, 0
	s_mov_b32 s35, exec_lo
                                        ; implicit-def: $vgpr65
                                        ; implicit-def: $vgpr71
	v_cndmask_b32_e32 v64, v70, v52, vcc_lo
	s_delay_alu instid0(VALU_DEP_1)
	v_cmpx_ne_u32_e32 0, v64
; %bb.396:                              ;   in Loop: Header=BB4_301 Depth=4
	v_cmp_lt_i32_e64 s11, 0, v80
	v_sub_nc_u32_e32 v52, v70, v52
	s_mov_b32 s12, exec_lo
	s_delay_alu instid0(VALU_DEP_2) | instskip(NEXT) | instid1(VALU_DEP_1)
	v_cndmask_b32_e64 v27, 0, v98, s11
	v_sub_nc_u32_e32 v27, v27, v80
	s_delay_alu instid0(VALU_DEP_1) | instskip(NEXT) | instid1(VALU_DEP_1)
	v_lshl_add_u32 v65, v27, 5, v69
	v_ashrrev_i32_e32 v27, 31, v65
	s_delay_alu instid0(VALU_DEP_1) | instskip(NEXT) | instid1(VALU_DEP_1)
	v_lshrrev_b32_e32 v27, 27, v27
	v_dual_cndmask_b32 v52, 0, v52 :: v_dual_add_nc_u32 v53, v65, v27
	s_delay_alu instid0(VALU_DEP_1) | instskip(NEXT) | instid1(VALU_DEP_2)
	v_add3_u32 v27, v55, v54, v52
	v_ashrrev_i32_e32 v71, 5, v53
; %bb.397:                              ;   in Loop: Header=BB4_301 Depth=4
	s_or_b32 exec_lo, exec_lo, s35
	s_delay_alu instid0(SALU_CYCLE_1)
	s_and_b32 s11, s12, exec_lo
.LBB4_398:                              ;   in Loop: Header=BB4_301 Depth=4
	s_or_b32 exec_lo, exec_lo, s34
.LBB4_399:                              ;   in Loop: Header=BB4_301 Depth=4
	s_and_saveexec_b32 s12, s11
	s_cbranch_execz .LBB4_411
; %bb.400:                              ;   in Loop: Header=BB4_301 Depth=4
	s_delay_alu instid0(VALU_DEP_1) | instskip(SKIP_1) | instid1(VALU_DEP_1)
	v_ashrrev_i32_e32 v52, 31, v64
	s_mov_b32 s11, exec_lo
	v_lshrrev_b32_e32 v52, 23, v52
	s_delay_alu instid0(VALU_DEP_1) | instskip(NEXT) | instid1(VALU_DEP_1)
	v_add_nc_u32_e32 v52, v64, v52
	v_ashrrev_i32_e32 v70, 9, v52
	s_delay_alu instid0(VALU_DEP_1) | instskip(NEXT) | instid1(VALU_DEP_1)
	v_sub_nc_u32_e32 v69, v70, v71
	v_cmpx_lt_i32_e32 0, v69
	s_cbranch_execz .LBB4_405
; %bb.401:                              ;   in Loop: Header=BB4_301 Depth=4
	s_cbranch_execnz .LBB4_913
; %bb.402:                              ;   in Loop: Header=BB4_301 Depth=4
	v_ashrrev_i32_e32 v52, 31, v65
	s_mov_b32 s34, 0
	s_delay_alu instid0(VALU_DEP_1) | instskip(NEXT) | instid1(VALU_DEP_1)
	v_lshrrev_b32_e32 v52, 27, v52
	v_add_nc_u32_e32 v54, v65, v52
	ds_load_b64 v[52:53], v0
	v_lshlrev_b32_e32 v55, 9, v71
	v_and_b32_e32 v54, 0xffffffe0, v54
	s_delay_alu instid0(VALU_DEP_1) | instskip(NEXT) | instid1(VALU_DEP_1)
	v_sub_nc_u32_e32 v54, v65, v54
	v_add3_u32 v71, v27, v54, v55
	s_delay_alu instid0(VALU_DEP_1)
	v_ashrrev_i32_e32 v80, 31, v71
	s_waitcnt lgkmcnt(0)
	v_dual_mov_b32 v55, v53 :: v_dual_mov_b32 v54, v52
.LBB4_403:                              ;   Parent Loop BB4_65 Depth=1
                                        ;     Parent Loop BB4_101 Depth=2
                                        ;       Parent Loop BB4_299 Depth=3
                                        ;         Parent Loop BB4_301 Depth=4
                                        ; =>        This Inner Loop Header: Depth=5
	s_delay_alu instid0(VALU_DEP_1) | instskip(NEXT) | instid1(VALU_DEP_2)
	v_add_co_u32 v81, vcc_lo, v71, v54
	v_add_co_ci_u32_e32 v82, vcc_lo, v80, v55, vcc_lo
	v_sub_nc_u32_e32 v69, v69, v98
	s_clause 0xf
	flat_load_u8 v83, v[81:82] slc dlc
	flat_load_u8 v84, v[81:82] offset:32 slc dlc
	flat_load_u8 v132, v[81:82] offset:64 slc dlc
	;; [unrolled: 1-line block ×15, first 2 shown]
	v_add_co_u32 v81, vcc_lo, v71, v52
	v_add_co_ci_u32_e32 v82, vcc_lo, v80, v53, vcc_lo
	v_add_co_u32 v54, vcc_lo, v54, v112
	v_add_co_ci_u32_e32 v55, vcc_lo, v55, v113, vcc_lo
	;; [unrolled: 2-line block ×3, first 2 shown]
	v_cmp_gt_i32_e32 vcc_lo, 1, v69
	s_waitcnt vmcnt(15) lgkmcnt(15)
	flat_store_b8 v[81:82], v83 glc slc dlc
	s_waitcnt vmcnt(14) lgkmcnt(15)
	flat_store_b8 v[81:82], v84 offset:32 glc slc dlc
	s_waitcnt vmcnt(13) lgkmcnt(15)
	flat_store_b8 v[81:82], v132 offset:64 glc slc dlc
	s_waitcnt vmcnt(12) lgkmcnt(15)
	flat_store_b8 v[81:82], v133 offset:96 glc slc dlc
	s_waitcnt vmcnt(11) lgkmcnt(15)
	flat_store_b8 v[81:82], v134 offset:128 glc slc dlc
	s_waitcnt vmcnt(10) lgkmcnt(15)
	flat_store_b8 v[81:82], v135 offset:160 glc slc dlc
	s_waitcnt vmcnt(9) lgkmcnt(15)
	flat_store_b8 v[81:82], v144 offset:192 glc slc dlc
	s_waitcnt vmcnt(8) lgkmcnt(15)
	flat_store_b8 v[81:82], v145 offset:224 glc slc dlc
	s_waitcnt vmcnt(7) lgkmcnt(15)
	flat_store_b8 v[81:82], v146 offset:256 glc slc dlc
	s_waitcnt vmcnt(6) lgkmcnt(15)
	flat_store_b8 v[81:82], v147 offset:288 glc slc dlc
	s_waitcnt vmcnt(5) lgkmcnt(15)
	flat_store_b8 v[81:82], v148 offset:320 glc slc dlc
	s_waitcnt vmcnt(4) lgkmcnt(15)
	flat_store_b8 v[81:82], v149 offset:352 glc slc dlc
	s_waitcnt vmcnt(3) lgkmcnt(15)
	flat_store_b8 v[81:82], v150 offset:384 glc slc dlc
	s_waitcnt vmcnt(2) lgkmcnt(15)
	flat_store_b8 v[81:82], v151 offset:416 glc slc dlc
	s_waitcnt vmcnt(1) lgkmcnt(15)
	flat_store_b8 v[81:82], v160 offset:448 glc slc dlc
	s_waitcnt vmcnt(0) lgkmcnt(15)
	flat_store_b8 v[81:82], v161 offset:480 glc slc dlc
	s_or_b32 s34, vcc_lo, s34
	s_delay_alu instid0(SALU_CYCLE_1)
	s_and_not1_b32 exec_lo, exec_lo, s34
	s_cbranch_execnz .LBB4_403
; %bb.404:                              ;   in Loop: Header=BB4_301 Depth=4
	s_or_b32 exec_lo, exec_lo, s34
.LBB4_405:                              ;   in Loop: Header=BB4_301 Depth=4
	s_delay_alu instid0(SALU_CYCLE_1) | instskip(SKIP_2) | instid1(VALU_DEP_1)
	s_or_b32 exec_lo, exec_lo, s11
	v_lshlrev_b32_e32 v52, 9, v70
	s_mov_b32 s34, exec_lo
	v_cmpx_ne_u32_e64 v64, v52
	s_cbranch_execz .LBB4_410
; %bb.406:                              ;   in Loop: Header=BB4_301 Depth=4
	v_ashrrev_i32_e32 v53, 31, v65
	v_lshlrev_b32_e32 v54, 5, v69
	s_delay_alu instid0(VALU_DEP_2) | instskip(NEXT) | instid1(VALU_DEP_1)
	v_lshrrev_b32_e32 v53, 27, v53
	v_add_nc_u32_e32 v53, v65, v53
	s_delay_alu instid0(VALU_DEP_1) | instskip(NEXT) | instid1(VALU_DEP_1)
	v_and_b32_e32 v53, 0xffffffe0, v53
	v_sub_nc_u32_e32 v53, v65, v53
	s_delay_alu instid0(VALU_DEP_1) | instskip(NEXT) | instid1(VALU_DEP_1)
	v_sub_nc_u32_e32 v53, v53, v54
	v_add_nc_u32_e32 v55, v52, v53
	s_delay_alu instid0(VALU_DEP_1) | instskip(NEXT) | instid1(VALU_DEP_1)
	v_sub_nc_u32_e32 v54, v64, v55
	v_cmp_lt_i32_e32 vcc_lo, 0, v54
	s_and_b32 exec_lo, exec_lo, vcc_lo
	s_cbranch_execz .LBB4_410
; %bb.407:                              ;   in Loop: Header=BB4_301 Depth=4
	s_cbranch_execnz .LBB4_947
; %bb.408:                              ;   in Loop: Header=BB4_301 Depth=4
	ds_load_b64 v[52:53], v0
	v_add_nc_u32_e32 v27, v55, v27
	s_mov_b32 s35, 0
	s_delay_alu instid0(VALU_DEP_1)
	v_ashrrev_i32_e32 v55, 31, v27
.LBB4_409:                              ;   Parent Loop BB4_65 Depth=1
                                        ;     Parent Loop BB4_101 Depth=2
                                        ;       Parent Loop BB4_299 Depth=3
                                        ;         Parent Loop BB4_301 Depth=4
                                        ; =>        This Inner Loop Header: Depth=5
	s_waitcnt lgkmcnt(0)
	v_add_co_u32 v64, vcc_lo, v52, v27
	s_delay_alu instid0(VALU_DEP_2)
	v_add_co_ci_u32_e32 v65, vcc_lo, v53, v55, vcc_lo
	v_sub_nc_u32_e32 v54, v54, v114
	v_add_co_u32 v27, s11, v27, v114
	flat_load_u8 v69, v[64:65] slc dlc
	v_add_co_ci_u32_e64 v55, s11, v55, v115, s11
	v_cmp_gt_i32_e32 vcc_lo, 1, v54
	s_or_b32 s35, vcc_lo, s35
	s_waitcnt vmcnt(0) lgkmcnt(0)
	flat_store_b8 v[64:65], v69 glc slc dlc
	s_and_not1_b32 exec_lo, exec_lo, s35
	s_cbranch_execnz .LBB4_409
.LBB4_410:                              ;   in Loop: Header=BB4_301 Depth=4
	s_or_b32 exec_lo, exec_lo, s34
.LBB4_411:                              ;   in Loop: Header=BB4_301 Depth=4
	s_delay_alu instid0(SALU_CYCLE_1)
	s_or_b32 exec_lo, exec_lo, s12
.LBB4_412:                              ;   in Loop: Header=BB4_301 Depth=4
	s_and_saveexec_b32 s11, s4
	s_cbranch_execz .LBB4_434
; %bb.413:                              ;   in Loop: Header=BB4_301 Depth=4
	s_and_saveexec_b32 s12, s5
	s_delay_alu instid0(SALU_CYCLE_1)
	s_xor_b32 s12, exec_lo, s12
	s_cbranch_execz .LBB4_431
; %bb.414:                              ;   in Loop: Header=BB4_301 Depth=4
	s_and_saveexec_b32 s34, s2
	s_cbranch_execz .LBB4_430
; %bb.415:                              ;   in Loop: Header=BB4_301 Depth=4
	s_mov_b32 s36, exec_lo
	s_mov_b32 s35, exec_lo
	v_mbcnt_lo_u32_b32 v27, s36, 0
	s_waitcnt lgkmcnt(0)
	s_waitcnt_vscnt null, 0x0
	buffer_gl1_inv
	buffer_gl0_inv
	v_cmpx_eq_u32_e32 0, v27
	s_cbranch_execz .LBB4_417
; %bb.416:                              ;   in Loop: Header=BB4_301 Depth=4
	s_bcnt1_i32_b32 vcc_lo, s36
	s_delay_alu instid0(SALU_CYCLE_1)
	v_dual_mov_b32 v53, v26 :: v_dual_mov_b32 v52, vcc_lo
	ds_add_u64 v0, v[52:53]
	s_cbranch_execnz .LBB4_939
.LBB4_417:                              ;   in Loop: Header=BB4_301 Depth=4
	s_or_b32 exec_lo, exec_lo, s35
	s_cbranch_execnz .LBB4_931
; %bb.418:                              ;   in Loop: Header=BB4_301 Depth=4
	ds_load_b64 v[52:53], v0
	v_add_co_u32 v10, vcc_lo, v10, v98
	v_add_co_ci_u32_e32 v11, vcc_lo, 0, v11, vcc_lo
	s_mov_b32 s35, exec_lo
	s_waitcnt lgkmcnt(0)
	s_delay_alu instid0(VALU_DEP_1)
	v_cmpx_lt_u64_e64 v[52:53], v[10:11]
	s_cbranch_execz .LBB4_429
; %bb.419:                              ;   in Loop: Header=BB4_301 Depth=4
	s_mov_b32 s36, 0
	s_mov_b32 s39, 0
                                        ; implicit-def: $sgpr37
                                        ; implicit-def: $sgpr38
	s_branch .LBB4_421
.LBB4_420:                              ;   in Loop: Header=BB4_421 Depth=5
	s_or_b32 exec_lo, exec_lo, s41
	s_delay_alu instid0(SALU_CYCLE_1) | instskip(NEXT) | instid1(SALU_CYCLE_1)
	s_and_b32 vcc_lo, exec_lo, vcc_lo
	s_or_b32 s36, vcc_lo, s36
	s_and_not1_b32 vcc_lo, s37, exec_lo
	s_and_b32 s37, s38, exec_lo
	s_delay_alu instid0(SALU_CYCLE_1)
	s_or_b32 s37, vcc_lo, s37
	s_and_not1_b32 exec_lo, exec_lo, s36
	s_cbranch_execz .LBB4_427
.LBB4_421:                              ;   Parent Loop BB4_65 Depth=1
                                        ;     Parent Loop BB4_101 Depth=2
                                        ;       Parent Loop BB4_299 Depth=3
                                        ;         Parent Loop BB4_301 Depth=4
                                        ; =>        This Inner Loop Header: Depth=5
	s_add_i32 s39, s39, 1
                                        ; implicit-def: $sgpr41
	s_delay_alu instid0(SALU_CYCLE_1) | instskip(SKIP_1) | instid1(SALU_CYCLE_1)
	s_cmpk_lg_i32 s39, 0x2710
	s_cselect_b32 s40, -1, 0
	s_and_b32 vcc_lo, exec_lo, s40
	s_cbranch_vccnz .LBB4_424
; %bb.422:                              ;   in Loop: Header=BB4_421 Depth=5
	s_cbranch_execnz .LBB4_963
; %bb.423:                              ;   in Loop: Header=BB4_421 Depth=5
	ds_load_b64 v[52:53], v0
	s_and_not1_b32 s40, s40, exec_lo
	s_mov_b32 s39, 0
	s_mov_b32 s41, -1
	s_waitcnt lgkmcnt(0)
	flat_load_b32 v27, v[52:53] glc
	s_waitcnt vmcnt(0) lgkmcnt(0)
	buffer_gl1_inv
	buffer_gl0_inv
	v_cmp_eq_u32_e32 vcc_lo, 0, v27
	s_and_b32 vcc_lo, vcc_lo, exec_lo
	s_delay_alu instid0(SALU_CYCLE_1)
	s_or_b32 s40, s40, vcc_lo
.LBB4_424:                              ;   in Loop: Header=BB4_421 Depth=5
	s_and_not1_b32 s38, s38, exec_lo
	s_and_b32 s41, s41, exec_lo
	s_mov_b32 vcc_lo, -1
	s_or_b32 s38, s38, s41
	s_and_saveexec_b32 s41, s40
	s_cbranch_execz .LBB4_420
; %bb.425:                              ;   in Loop: Header=BB4_421 Depth=5
	s_sleep 1
	s_cbranch_execnz .LBB4_959
; %bb.426:                              ;   in Loop: Header=BB4_421 Depth=5
	ds_load_b64 v[52:53], v0
	s_and_not1_b32 s38, s38, exec_lo
	s_waitcnt lgkmcnt(0)
	v_cmp_ge_u64_e32 vcc_lo, v[52:53], v[10:11]
	s_or_not1_b32 vcc_lo, vcc_lo, exec_lo
	s_branch .LBB4_420
.LBB4_427:                              ;   in Loop: Header=BB4_301 Depth=4
	s_or_b32 exec_lo, exec_lo, s36
	s_and_saveexec_b32 vcc_lo, s37
	s_delay_alu instid0(SALU_CYCLE_1)
	s_xor_b32 vcc_lo, exec_lo, vcc_lo
	s_cbranch_execz .LBB4_429
; %bb.428:                              ;   in Loop: Header=BB4_301 Depth=4
	ds_store_b32 v0, v119
	s_cbranch_execnz .LBB4_983
.LBB4_429:                              ;   in Loop: Header=BB4_301 Depth=4
	s_or_b32 exec_lo, exec_lo, s35
	;;#ASMSTART
	s_wakeup
	;;#ASMEND
.LBB4_430:                              ;   in Loop: Header=BB4_301 Depth=4
	s_or_b32 exec_lo, exec_lo, s34
.LBB4_431:                              ;   in Loop: Header=BB4_301 Depth=4
	s_and_not1_saveexec_b32 s12, s12
	s_cbranch_execz .LBB4_433
; %bb.432:                              ;   in Loop: Header=BB4_301 Depth=4
	s_waitcnt lgkmcnt(0)
	s_waitcnt_vscnt null, 0x0
	buffer_gl1_inv
	buffer_gl0_inv
	s_barrier
.LBB4_433:                              ;   in Loop: Header=BB4_301 Depth=4
	s_or_b32 exec_lo, exec_lo, s12
.LBB4_434:                              ;   in Loop: Header=BB4_301 Depth=4
	s_delay_alu instid0(SALU_CYCLE_1) | instskip(SKIP_2) | instid1(VALU_DEP_2)
	s_or_b32 exec_lo, exec_lo, s11
	v_and_b32_e32 v27, 16, v86
	v_cmp_lt_i32_e32 vcc_lo, 0, v9
	v_cmp_ne_u32_e64 s11, 0, v27
	s_delay_alu instid0(VALU_DEP_1) | instskip(NEXT) | instid1(SALU_CYCLE_1)
	s_and_b32 s12, s11, vcc_lo
	s_and_saveexec_b32 s11, s12
	s_cbranch_execz .LBB4_436
; %bb.435:                              ;   in Loop: Header=BB4_301 Depth=4
	s_waitcnt lgkmcnt(0)
	s_waitcnt_vscnt null, 0x0
	buffer_gl1_inv
	buffer_gl0_inv
.LBB4_436:                              ;   in Loop: Header=BB4_301 Depth=4
	s_or_b32 exec_lo, exec_lo, s11
	v_cmp_ne_u32_e32 vcc_lo, 0, v27
	s_xor_b32 s11, s7, -1
	s_delay_alu instid0(SALU_CYCLE_1) | instskip(NEXT) | instid1(SALU_CYCLE_1)
	s_and_b32 s12, vcc_lo, s11
	s_and_saveexec_b32 s11, s12
	s_cbranch_execz .LBB4_438
; %bb.437:                              ;   in Loop: Header=BB4_301 Depth=4
	s_waitcnt lgkmcnt(0)
	s_waitcnt_vscnt null, 0x0
	flat_store_b32 v[24:25], v119
.LBB4_438:                              ;   in Loop: Header=BB4_301 Depth=4
	s_or_b32 exec_lo, exec_lo, s11
	v_and_b32_e32 v9, 48, v86
	s_mov_b32 s11, exec_lo
	s_delay_alu instid0(VALU_DEP_1)
	v_cmpx_ne_u32_e32 0, v9
	s_cbranch_execz .LBB4_440
; %bb.439:                              ;   in Loop: Header=BB4_301 Depth=4
	v_add_co_u32 v18, vcc_lo, v18, 2
	v_add_co_ci_u32_e32 v19, vcc_lo, 0, v19, vcc_lo
	s_waitcnt lgkmcnt(0)
	s_waitcnt_vscnt null, 0x0
	flat_store_b64 v[16:17], v[18:19]
.LBB4_440:                              ;   in Loop: Header=BB4_301 Depth=4
	s_or_b32 exec_lo, exec_lo, s11
	v_dual_mov_b32 v9, s31 :: v_dual_add_nc_u32 v68, v8, v68
	s_xor_b32 s11, s30, -1
	s_mov_b32 s30, 0
	s_mov_b32 s31, 2
	s_delay_alu instid0(VALU_DEP_1) | instskip(SKIP_1) | instid1(SALU_CYCLE_1)
	v_cmp_ge_i32_e32 vcc_lo, v68, v66
	s_or_b32 s11, s11, vcc_lo
	s_and_b32 s11, exec_lo, s11
	s_delay_alu instid0(SALU_CYCLE_1) | instskip(NEXT) | instid1(SALU_CYCLE_1)
	s_or_b32 vcc_hi, s11, vcc_hi
	s_and_not1_b32 exec_lo, exec_lo, vcc_hi
	s_cbranch_execnz .LBB4_301
; %bb.441:                              ;   in Loop: Header=BB4_299 Depth=3
	s_or_b32 exec_lo, exec_lo, vcc_hi
.LBB4_442:                              ;   in Loop: Header=BB4_299 Depth=3
	s_delay_alu instid0(SALU_CYCLE_1) | instskip(NEXT) | instid1(SALU_CYCLE_1)
	s_or_b32 exec_lo, exec_lo, s29
	s_mov_b32 s12, exec_lo
	v_cmpx_gt_i32_e32 2, v9
	s_cbranch_execz .LBB4_504
; %bb.443:                              ;   in Loop: Header=BB4_299 Depth=3
	v_cmp_eq_u32_e64 s11, 0, v9
	s_mov_b32 s29, 0
.LBB4_444:                              ;   Parent Loop BB4_65 Depth=1
                                        ;     Parent Loop BB4_101 Depth=2
                                        ;       Parent Loop BB4_299 Depth=3
                                        ; =>      This Loop Header: Depth=4
                                        ;           Child Loop BB4_450 Depth 5
                                        ;           Child Loop BB4_482 Depth 5
	v_and_b32_e32 v9, 12, v86
	s_mov_b32 s30, -1
	s_mov_b32 vcc_hi, exec_lo
	s_delay_alu instid0(VALU_DEP_1)
	v_cmpx_ne_u32_e32 0, v9
	s_cbranch_execz .LBB4_458
; %bb.445:                              ;   in Loop: Header=BB4_444 Depth=4
	v_and_b32_e32 v9, 8, v86
	v_mov_b32_e32 v27, 1
	s_mov_b32 s30, exec_lo
	s_delay_alu instid0(VALU_DEP_2) | instskip(SKIP_3) | instid1(VALU_DEP_1)
	v_add_co_u32 v54, vcc_lo, v22, v9
	v_add_co_ci_u32_e32 v55, vcc_lo, 0, v23, vcc_lo
	v_add_co_u32 v52, vcc_lo, v18, 2
	v_add_co_ci_u32_e32 v53, vcc_lo, 0, v19, vcc_lo
	v_cmpx_lt_u64_e64 v[54:55], v[52:53]
	s_cbranch_execz .LBB4_457
; %bb.446:                              ;   in Loop: Header=BB4_444 Depth=4
	v_mov_b32_e32 v27, 0
	s_mov_b32 s31, 0
                                        ; implicit-def: $sgpr34
	s_branch .LBB4_450
.LBB4_447:                              ;   in Loop: Header=BB4_450 Depth=5
	s_or_b32 exec_lo, exec_lo, s38
	v_mov_b32_e32 v54, 0
	s_or_not1_b32 s37, s37, exec_lo
.LBB4_448:                              ;   in Loop: Header=BB4_450 Depth=5
	s_or_b32 exec_lo, exec_lo, s36
	s_delay_alu instid0(VALU_DEP_1) | instskip(SKIP_2) | instid1(SALU_CYCLE_1)
	v_mov_b32_e32 v27, v54
	s_and_not1_b32 vcc_lo, s34, exec_lo
	s_and_b32 s34, s37, exec_lo
	s_or_b32 s34, vcc_lo, s34
.LBB4_449:                              ;   in Loop: Header=BB4_450 Depth=5
	s_or_b32 exec_lo, exec_lo, s35
	s_waitcnt vmcnt(0) lgkmcnt(0)
	v_add_co_u32 v54, vcc_lo, v22, v9
	v_add_co_ci_u32_e32 v55, vcc_lo, 0, v23, vcc_lo
	s_xor_b32 s35, s34, -1
	s_delay_alu instid0(VALU_DEP_1) | instskip(SKIP_1) | instid1(SALU_CYCLE_1)
	v_cmp_ge_u64_e32 vcc_lo, v[54:55], v[52:53]
	s_or_b32 vcc_lo, s35, vcc_lo
	s_and_b32 vcc_lo, exec_lo, vcc_lo
	s_delay_alu instid0(SALU_CYCLE_1) | instskip(NEXT) | instid1(SALU_CYCLE_1)
	s_or_b32 s31, vcc_lo, s31
	s_and_not1_b32 exec_lo, exec_lo, s31
	s_cbranch_execz .LBB4_456
.LBB4_450:                              ;   Parent Loop BB4_65 Depth=1
                                        ;     Parent Loop BB4_101 Depth=2
                                        ;       Parent Loop BB4_299 Depth=3
                                        ;         Parent Loop BB4_444 Depth=4
                                        ; =>        This Inner Loop Header: Depth=5
	s_sleep 1
	flat_load_b64 v[22:23], v[16:17] glc
	v_and_b32_e32 v54, 64, v86
	s_and_not1_b32 s34, s34, exec_lo
	s_mov_b32 s35, exec_lo
	s_delay_alu instid0(VALU_DEP_1)
	v_cmpx_eq_u32_e32 0, v54
	s_cbranch_execz .LBB4_449
; %bb.451:                              ;   in Loop: Header=BB4_450 Depth=5
	v_add_nc_u32_e32 v54, 1, v27
	s_mov_b32 s37, -1
	s_mov_b32 s36, exec_lo
	v_cmpx_lt_i32_e32 0x270e, v27
	s_cbranch_execz .LBB4_448
; %bb.452:                              ;   in Loop: Header=BB4_450 Depth=5
	s_cbranch_execnz .LBB4_817
; %bb.453:                              ;   in Loop: Header=BB4_450 Depth=5
	ds_load_b64 v[54:55], v0
	s_mov_b32 s38, exec_lo
	s_waitcnt vmcnt(0) lgkmcnt(0)
	s_waitcnt_vscnt null, 0x0
	flat_load_b32 v27, v[54:55] glc
	s_waitcnt vmcnt(0) lgkmcnt(0)
	buffer_gl1_inv
	buffer_gl0_inv
	v_cmpx_ne_u32_e32 0, v27
	s_cbranch_execz .LBB4_447
; %bb.454:                              ;   in Loop: Header=BB4_450 Depth=5
	ds_store_b32 v0, v27
	s_cbranch_execnz .LBB4_859
; %bb.455:                              ;   in Loop: Header=BB4_450 Depth=5
	v_or_b32_e32 v86, 64, v86
	s_xor_b32 s37, exec_lo, -1
	s_branch .LBB4_447
.LBB4_456:                              ;   in Loop: Header=BB4_444 Depth=4
	s_or_b32 exec_lo, exec_lo, s31
	v_and_b32_e32 v27, 12, v86
.LBB4_457:                              ;   in Loop: Header=BB4_444 Depth=4
	s_or_b32 exec_lo, exec_lo, s30
	s_delay_alu instid0(VALU_DEP_1)
	v_cmp_eq_u32_e32 vcc_lo, 0, v27
	;;#ASMSTART
	s_wakeup
	;;#ASMEND
	s_or_not1_b32 s30, vcc_lo, exec_lo
.LBB4_458:                              ;   in Loop: Header=BB4_444 Depth=4
	s_or_b32 exec_lo, exec_lo, vcc_hi
	v_sub_nc_u32_e32 v9, v66, v68
	s_xor_b32 s11, s11, -1
	s_delay_alu instid0(SALU_CYCLE_1) | instskip(NEXT) | instid1(SALU_CYCLE_1)
	s_and_b32 s11, exec_lo, s11
	s_or_b32 s29, s11, s29
	s_delay_alu instid0(VALU_DEP_1) | instskip(SKIP_1) | instid1(SALU_CYCLE_1)
	v_min_i32_e32 v8, v8, v9
	s_xor_b32 s11, s30, -1
	s_and_saveexec_b32 vcc_hi, s11
	s_cbranch_execz .LBB4_473
; %bb.459:                              ;   in Loop: Header=BB4_444 Depth=4
	v_and_b32_e32 v9, 0x108, v86
	v_and_b32_e32 v27, 7, v18
	s_mov_b32 s11, exec_lo
	s_delay_alu instid0(VALU_DEP_2)
	v_cmpx_ne_u32_e32 0x108, v9
	s_xor_b32 s11, exec_lo, s11
                                        ; implicit-def: $vgpr52_vgpr53
; %bb.460:                              ;   in Loop: Header=BB4_444 Depth=4
	v_mov_b32_e32 v53, v26
; %bb.461:                              ;   in Loop: Header=BB4_444 Depth=4
	s_and_not1_saveexec_b32 s11, s11
	s_cbranch_execz .LBB4_463
; %bb.462:                              ;   in Loop: Header=BB4_444 Depth=4
	v_mad_u64_u32 v[54:55], null, v27, 24, v[4:5]
	v_ashrrev_i32_e32 v9, 31, v8
	v_mov_b32_e32 v53, v26
	flat_store_b64 v[54:55], v[8:9] offset:8
.LBB4_463:                              ;   in Loop: Header=BB4_444 Depth=4
	s_or_b32 exec_lo, exec_lo, s11
	v_and_b32_e32 v9, 0x100, v86
	s_mov_b32 s11, -1
	s_mov_b32 s30, exec_lo
                                        ; implicit-def: $vgpr54_vgpr55
	s_delay_alu instid0(VALU_DEP_1)
	v_cmpx_ne_u32_e32 0, v9
	s_cbranch_execnz .LBB4_466
; %bb.464:                              ;   in Loop: Header=BB4_444 Depth=4
	s_or_b32 exec_lo, exec_lo, s30
	s_and_saveexec_b32 vcc_lo, s11
	s_cbranch_execnz .LBB4_469
.LBB4_465:                              ;   in Loop: Header=BB4_444 Depth=4
	s_or_b32 exec_lo, exec_lo, vcc_lo
	s_cbranch_execnz .LBB4_813
	s_branch .LBB4_470
.LBB4_466:                              ;   in Loop: Header=BB4_444 Depth=4
	v_mad_u64_u32 v[64:65], null, v27, 24, v[4:5]
	s_mov_b32 s31, exec_lo
	s_delay_alu instid0(VALU_DEP_1) | instskip(NEXT) | instid1(VALU_DEP_1)
	v_mov_b32_e32 v9, v65
	v_mad_u64_u32 v[54:55], null, v53, 24, v[9:10]
	s_delay_alu instid0(VALU_DEP_1)
	v_mov_b32_e32 v65, v54
                                        ; implicit-def: $vgpr54_vgpr55
	flat_load_b32 v9, v[64:65]
	s_waitcnt vmcnt(0) lgkmcnt(0)
	v_cmp_ne_u32_e32 vcc_lo, 1, v9
	v_cmpx_eq_u32_e32 1, v9
	s_cbranch_execz .LBB4_468
; %bb.467:                              ;   in Loop: Header=BB4_444 Depth=4
	flat_load_b32 v54, v[64:65] offset:4 glc
	s_waitcnt vmcnt(0) lgkmcnt(0)
	v_ashrrev_i32_e32 v55, 31, v54
.LBB4_468:                              ;   in Loop: Header=BB4_444 Depth=4
	s_or_b32 exec_lo, exec_lo, s31
	s_delay_alu instid0(SALU_CYCLE_1)
	s_or_not1_b32 s11, vcc_lo, exec_lo
	s_or_b32 exec_lo, exec_lo, s30
	s_and_saveexec_b32 vcc_lo, s11
	s_cbranch_execz .LBB4_465
.LBB4_469:                              ;   in Loop: Header=BB4_444 Depth=4
	v_mul_lo_u32 v9, v53, v87
	v_mul_lo_u32 v52, v27, v116
	v_mad_u64_u32 v[54:55], null, v27, v87, 0
	s_delay_alu instid0(VALU_DEP_1)
	v_add3_u32 v55, v55, v52, v9
	s_or_b32 exec_lo, exec_lo, vcc_lo
	s_cbranch_execnz .LBB4_813
.LBB4_470:                              ;   in Loop: Header=BB4_444 Depth=4
	s_delay_alu instid0(VALU_DEP_2)
	v_add_co_u32 v52, vcc_lo, v20, v54
	v_and_b32_e32 v9, 0x2000, v86
	v_add_co_ci_u32_e32 v53, vcc_lo, v21, v55, vcc_lo
	s_mov_b32 s11, exec_lo
	ds_store_b64 v0, v[52:53]
	v_cmpx_ne_u32_e32 0, v9
	s_cbranch_execz .LBB4_472
; %bb.471:                              ;   in Loop: Header=BB4_444 Depth=4
	ds_load_b64 v[52:53], v0 offset:584
	s_waitcnt lgkmcnt(0)
	v_add_co_u32 v52, vcc_lo, v52, 1
	v_add_co_ci_u32_e32 v53, vcc_lo, 0, v53, vcc_lo
	ds_store_b64 v0, v[52:53] offset:584
.LBB4_472:                              ;   in Loop: Header=BB4_444 Depth=4
	s_or_b32 exec_lo, exec_lo, s11
	v_add_co_u32 v18, vcc_lo, v18, 2
	v_add_co_ci_u32_e32 v19, vcc_lo, 0, v19, vcc_lo
.LBB4_473:                              ;   in Loop: Header=BB4_444 Depth=4
	s_or_b32 exec_lo, exec_lo, vcc_hi
	s_and_saveexec_b32 s11, s4
	s_cbranch_execz .LBB4_495
; %bb.474:                              ;   in Loop: Header=BB4_444 Depth=4
	s_and_saveexec_b32 vcc_lo, s5
	s_delay_alu instid0(SALU_CYCLE_1)
	s_xor_b32 vcc_hi, exec_lo, vcc_lo
	s_cbranch_execz .LBB4_492
; %bb.475:                              ;   in Loop: Header=BB4_444 Depth=4
	s_and_saveexec_b32 s30, s2
	s_cbranch_execz .LBB4_491
; %bb.476:                              ;   in Loop: Header=BB4_444 Depth=4
	s_mov_b32 s34, exec_lo
	s_mov_b32 s31, exec_lo
	v_mbcnt_lo_u32_b32 v9, s34, 0
	s_waitcnt lgkmcnt(0)
	s_waitcnt_vscnt null, 0x0
	buffer_gl1_inv
	buffer_gl0_inv
	v_cmpx_eq_u32_e32 0, v9
	s_cbranch_execz .LBB4_478
; %bb.477:                              ;   in Loop: Header=BB4_444 Depth=4
	s_bcnt1_i32_b32 vcc_lo, s34
	s_delay_alu instid0(SALU_CYCLE_1)
	v_dual_mov_b32 v53, v26 :: v_dual_mov_b32 v52, vcc_lo
	ds_add_u64 v0, v[52:53]
	s_cbranch_execnz .LBB4_889
.LBB4_478:                              ;   in Loop: Header=BB4_444 Depth=4
	s_or_b32 exec_lo, exec_lo, s31
	s_cbranch_execnz .LBB4_875
; %bb.479:                              ;   in Loop: Header=BB4_444 Depth=4
	ds_load_b64 v[52:53], v0
	v_add_co_u32 v10, vcc_lo, v10, v98
	v_add_co_ci_u32_e32 v11, vcc_lo, 0, v11, vcc_lo
	s_mov_b32 s31, exec_lo
	s_waitcnt lgkmcnt(0)
	s_delay_alu instid0(VALU_DEP_1)
	v_cmpx_lt_u64_e64 v[52:53], v[10:11]
	s_cbranch_execz .LBB4_490
; %bb.480:                              ;   in Loop: Header=BB4_444 Depth=4
	s_mov_b32 s34, 0
	s_mov_b32 s37, 0
                                        ; implicit-def: $sgpr35
                                        ; implicit-def: $sgpr36
	s_branch .LBB4_482
.LBB4_481:                              ;   in Loop: Header=BB4_482 Depth=5
	s_or_b32 exec_lo, exec_lo, s39
	s_delay_alu instid0(SALU_CYCLE_1) | instskip(NEXT) | instid1(SALU_CYCLE_1)
	s_and_b32 vcc_lo, exec_lo, vcc_lo
	s_or_b32 s34, vcc_lo, s34
	s_and_not1_b32 vcc_lo, s35, exec_lo
	s_and_b32 s35, s36, exec_lo
	s_delay_alu instid0(SALU_CYCLE_1)
	s_or_b32 s35, vcc_lo, s35
	s_and_not1_b32 exec_lo, exec_lo, s34
	s_cbranch_execz .LBB4_488
.LBB4_482:                              ;   Parent Loop BB4_65 Depth=1
                                        ;     Parent Loop BB4_101 Depth=2
                                        ;       Parent Loop BB4_299 Depth=3
                                        ;         Parent Loop BB4_444 Depth=4
                                        ; =>        This Inner Loop Header: Depth=5
	s_add_i32 s37, s37, 1
                                        ; implicit-def: $sgpr39
	s_delay_alu instid0(SALU_CYCLE_1) | instskip(SKIP_1) | instid1(SALU_CYCLE_1)
	s_cmpk_lg_i32 s37, 0x2710
	s_cselect_b32 s38, -1, 0
	s_and_b32 vcc_lo, exec_lo, s38
	s_cbranch_vccz .LBB4_486
.LBB4_483:                              ;   in Loop: Header=BB4_482 Depth=5
	s_and_not1_b32 s36, s36, exec_lo
	s_and_b32 s39, s39, exec_lo
	s_mov_b32 vcc_lo, -1
	s_or_b32 s36, s36, s39
	s_and_saveexec_b32 s39, s38
	s_cbranch_execz .LBB4_481
; %bb.484:                              ;   in Loop: Header=BB4_482 Depth=5
	s_sleep 1
	s_cbranch_execnz .LBB4_915
; %bb.485:                              ;   in Loop: Header=BB4_482 Depth=5
	ds_load_b64 v[52:53], v0
	s_and_not1_b32 s36, s36, exec_lo
	s_waitcnt lgkmcnt(0)
	v_cmp_ge_u64_e32 vcc_lo, v[52:53], v[10:11]
	s_or_not1_b32 vcc_lo, vcc_lo, exec_lo
	s_branch .LBB4_481
.LBB4_486:                              ;   in Loop: Header=BB4_482 Depth=5
	s_cbranch_execnz .LBB4_929
; %bb.487:                              ;   in Loop: Header=BB4_482 Depth=5
	ds_load_b64 v[52:53], v0
	s_and_not1_b32 s38, s38, exec_lo
	s_mov_b32 s37, 0
	s_mov_b32 s39, -1
	s_waitcnt lgkmcnt(0)
	flat_load_b32 v9, v[52:53] glc
	s_waitcnt vmcnt(0) lgkmcnt(0)
	buffer_gl1_inv
	buffer_gl0_inv
	v_cmp_eq_u32_e32 vcc_lo, 0, v9
	s_and_b32 vcc_lo, vcc_lo, exec_lo
	s_delay_alu instid0(SALU_CYCLE_1)
	s_or_b32 s38, s38, vcc_lo
	s_branch .LBB4_483
.LBB4_488:                              ;   in Loop: Header=BB4_444 Depth=4
	s_or_b32 exec_lo, exec_lo, s34
	s_and_saveexec_b32 vcc_lo, s35
	s_delay_alu instid0(SALU_CYCLE_1)
	s_xor_b32 vcc_lo, exec_lo, vcc_lo
	s_cbranch_execz .LBB4_490
; %bb.489:                              ;   in Loop: Header=BB4_444 Depth=4
	ds_store_b32 v0, v119
	s_cbranch_execnz .LBB4_975
.LBB4_490:                              ;   in Loop: Header=BB4_444 Depth=4
	s_or_b32 exec_lo, exec_lo, s31
	;;#ASMSTART
	s_wakeup
	;;#ASMEND
.LBB4_491:                              ;   in Loop: Header=BB4_444 Depth=4
	s_or_b32 exec_lo, exec_lo, s30
.LBB4_492:                              ;   in Loop: Header=BB4_444 Depth=4
	s_and_not1_saveexec_b32 vcc_lo, vcc_hi
	s_cbranch_execz .LBB4_494
; %bb.493:                              ;   in Loop: Header=BB4_444 Depth=4
	s_waitcnt lgkmcnt(0)
	s_waitcnt_vscnt null, 0x0
	buffer_gl1_inv
	buffer_gl0_inv
	s_barrier
.LBB4_494:                              ;   in Loop: Header=BB4_444 Depth=4
	s_or_b32 exec_lo, exec_lo, vcc_lo
.LBB4_495:                              ;   in Loop: Header=BB4_444 Depth=4
	s_delay_alu instid0(SALU_CYCLE_1)
	s_or_b32 exec_lo, exec_lo, s11
	s_cbranch_execnz .LBB4_805
; %bb.496:                              ;   in Loop: Header=BB4_444 Depth=4
	ds_load_b32 v9, v0
	v_cmp_lt_i32_e32 vcc_lo, 0, v8
	s_waitcnt lgkmcnt(0)
	v_readfirstlane_b32 s11, v9
	v_and_b32_e32 v9, 16, v86
	s_delay_alu instid0(VALU_DEP_2) | instskip(NEXT) | instid1(VALU_DEP_1)
	s_cmp_eq_u32 s11, 0
	v_cmp_ne_u32_e64 s11, 0, v9
	s_cselect_b32 vcc_hi, -1, 0
	s_delay_alu instid0(SALU_CYCLE_1)
	s_and_b32 vcc_lo, vcc_lo, vcc_hi
	s_delay_alu instid0(VALU_DEP_1) | instid1(SALU_CYCLE_1)
	s_and_b32 vcc_lo, s11, vcc_lo
	s_delay_alu instid0(SALU_CYCLE_1)
	s_and_saveexec_b32 s11, vcc_lo
	s_cbranch_execz .LBB4_498
; %bb.497:                              ;   in Loop: Header=BB4_444 Depth=4
	s_waitcnt_vscnt null, 0x0
	buffer_gl1_inv
	buffer_gl0_inv
.LBB4_498:                              ;   in Loop: Header=BB4_444 Depth=4
	s_or_b32 exec_lo, exec_lo, s11
	v_cmp_ne_u32_e32 vcc_lo, 0, v9
	s_xor_b32 s11, s7, -1
	s_delay_alu instid0(SALU_CYCLE_1) | instskip(NEXT) | instid1(SALU_CYCLE_1)
	s_and_b32 vcc_lo, vcc_lo, s11
	s_and_saveexec_b32 s11, vcc_lo
	s_cbranch_execz .LBB4_500
; %bb.499:                              ;   in Loop: Header=BB4_444 Depth=4
	s_waitcnt_vscnt null, 0x0
	flat_store_b32 v[24:25], v119
.LBB4_500:                              ;   in Loop: Header=BB4_444 Depth=4
	s_or_b32 exec_lo, exec_lo, s11
	v_and_b32_e32 v9, 48, v86
	s_mov_b32 s11, exec_lo
	s_delay_alu instid0(VALU_DEP_1)
	v_cmpx_ne_u32_e32 0, v9
	s_cbranch_execz .LBB4_502
; %bb.501:                              ;   in Loop: Header=BB4_444 Depth=4
	v_add_co_u32 v18, vcc_lo, v18, 2
	v_add_co_ci_u32_e32 v19, vcc_lo, 0, v19, vcc_lo
	s_waitcnt lgkmcnt(0)
	s_waitcnt_vscnt null, 0x0
	flat_store_b64 v[16:17], v[18:19]
.LBB4_502:                              ;   in Loop: Header=BB4_444 Depth=4
	s_or_b32 exec_lo, exec_lo, s11
	v_add_nc_u32_e32 v68, v8, v68
	s_mov_b32 s11, 0
	s_and_not1_b32 exec_lo, exec_lo, s29
	s_cbranch_execnz .LBB4_444
; %bb.503:                              ;   in Loop: Header=BB4_299 Depth=3
	s_or_b32 exec_lo, exec_lo, s29
.LBB4_504:                              ;   in Loop: Header=BB4_299 Depth=3
	s_delay_alu instid0(SALU_CYCLE_1) | instskip(SKIP_1) | instid1(SALU_CYCLE_1)
	s_or_b32 exec_lo, exec_lo, s12
	s_add_i32 s28, s28, 1
	s_cmp_ge_i32 s28, s24
	s_cbranch_scc0 .LBB4_299
.LBB4_505:                              ;   in Loop: Header=BB4_101 Depth=2
	v_add_co_u32 v64, vcc_lo, v6, v130
	v_add_co_ci_u32_e32 v65, vcc_lo, v7, v131, vcc_lo
	s_mov_b32 s28, 0
	s_delay_alu instid0(VALU_DEP_2) | instskip(SKIP_1) | instid1(VALU_DEP_2)
	v_max_i32_e32 v27, 0, v64
	v_cmp_lt_i32_e32 vcc_lo, 0, v64
	v_dual_mov_b32 v55, 0 :: v_dual_add_nc_u32 v8, 31, v27
	s_and_b32 s11, s21, vcc_lo
	s_delay_alu instid0(VALU_DEP_1) | instskip(NEXT) | instid1(VALU_DEP_1)
	v_lshrrev_b32_e32 v8, 1, v8
	v_dual_mov_b32 v8, 0 :: v_dual_and_b32 v9, 0x3ffffff0, v8
	s_delay_alu instid0(VALU_DEP_1)
	v_max_i32_e32 v54, s19, v9
	s_and_saveexec_b32 s27, s11
	s_cbranch_execz .LBB4_642
; %bb.506:                              ;   in Loop: Header=BB4_101 Depth=2
	v_mov_b32_e32 v55, 0
	s_mov_b32 vcc_hi, 1
	s_mov_b32 s29, -1
.LBB4_507:                              ;   Parent Loop BB4_65 Depth=1
                                        ;     Parent Loop BB4_101 Depth=2
                                        ; =>    This Loop Header: Depth=3
                                        ;         Child Loop BB4_516 Depth 4
                                        ;         Child Loop BB4_543 Depth 4
	;; [unrolled: 1-line block ×8, first 2 shown]
	s_and_saveexec_b32 s12, s0
	s_cbranch_execz .LBB4_510
; %bb.508:                              ;   in Loop: Header=BB4_507 Depth=3
	s_cbranch_execnz .LBB4_795
; %bb.509:                              ;   in Loop: Header=BB4_507 Depth=3
	ds_load_b128 v[66:69], v0
	v_ashrrev_i32_e32 v9, 31, v55
	s_waitcnt lgkmcnt(0)
	v_add_co_u32 v8, vcc_lo, v68, v64
	v_add_co_ci_u32_e32 v52, vcc_lo, v69, v65, vcc_lo
	v_add_co_u32 v53, vcc_lo, v66, v64
	v_add_co_ci_u32_e32 v66, vcc_lo, v67, v65, vcc_lo
	s_delay_alu instid0(VALU_DEP_4) | instskip(NEXT) | instid1(VALU_DEP_4)
	v_add_co_u32 v67, vcc_lo, v8, v55
	v_add_co_ci_u32_e32 v52, vcc_lo, v52, v9, vcc_lo
	v_cmp_ne_u64_e32 vcc_lo, 0, v[68:69]
	v_add_co_u32 v8, s11, v53, v55
	s_delay_alu instid0(VALU_DEP_1) | instskip(NEXT) | instid1(VALU_DEP_4)
	v_add_co_ci_u32_e64 v9, s11, v66, v9, s11
	v_dual_cndmask_b32 v53, 0, v52 :: v_dual_cndmask_b32 v52, 0, v67
	ds_store_b64 v0, v[8:9]
	ds_store_b64 v0, v[52:53]
.LBB4_510:                              ;   in Loop: Header=BB4_507 Depth=3
	s_or_b32 exec_lo, exec_lo, s12
	v_and_b32_e32 v8, 4, v86
	s_mov_b32 s12, -1
	s_mov_b32 s11, exec_lo
	s_delay_alu instid0(VALU_DEP_1)
	v_cmpx_ne_u32_e32 0, v8
	s_cbranch_execz .LBB4_524
; %bb.511:                              ;   in Loop: Header=BB4_507 Depth=3
	v_add_co_u32 v8, vcc_lo, v18, 2
	v_add_co_ci_u32_e32 v9, vcc_lo, 0, v19, vcc_lo
	v_mov_b32_e32 v52, 1
	s_mov_b32 s12, exec_lo
	s_delay_alu instid0(VALU_DEP_2)
	v_cmpx_lt_u64_e64 v[22:23], v[8:9]
	s_cbranch_execz .LBB4_523
; %bb.512:                              ;   in Loop: Header=BB4_507 Depth=3
	v_mov_b32_e32 v52, 0
	s_mov_b32 s30, 0
                                        ; implicit-def: $sgpr31
	s_branch .LBB4_516
.LBB4_513:                              ;   in Loop: Header=BB4_516 Depth=4
	s_or_b32 exec_lo, exec_lo, s37
	v_mov_b32_e32 v53, 0
	s_or_not1_b32 s36, s36, exec_lo
.LBB4_514:                              ;   in Loop: Header=BB4_516 Depth=4
	s_or_b32 exec_lo, exec_lo, s35
	s_delay_alu instid0(VALU_DEP_1) | instskip(SKIP_2) | instid1(SALU_CYCLE_1)
	v_mov_b32_e32 v52, v53
	s_and_not1_b32 vcc_lo, s31, exec_lo
	s_and_b32 s31, s36, exec_lo
	s_or_b32 s31, vcc_lo, s31
.LBB4_515:                              ;   in Loop: Header=BB4_516 Depth=4
	s_or_b32 exec_lo, exec_lo, s34
	s_waitcnt vmcnt(0) lgkmcnt(0)
	v_cmp_ge_u64_e32 vcc_lo, v[22:23], v[8:9]
	s_xor_b32 s34, s31, -1
	s_delay_alu instid0(SALU_CYCLE_1) | instskip(NEXT) | instid1(SALU_CYCLE_1)
	s_or_b32 vcc_lo, s34, vcc_lo
	s_and_b32 vcc_lo, exec_lo, vcc_lo
	s_delay_alu instid0(SALU_CYCLE_1) | instskip(NEXT) | instid1(SALU_CYCLE_1)
	s_or_b32 s30, vcc_lo, s30
	s_and_not1_b32 exec_lo, exec_lo, s30
	s_cbranch_execz .LBB4_522
.LBB4_516:                              ;   Parent Loop BB4_65 Depth=1
                                        ;     Parent Loop BB4_101 Depth=2
                                        ;       Parent Loop BB4_507 Depth=3
                                        ; =>      This Inner Loop Header: Depth=4
	s_sleep 1
	flat_load_b64 v[22:23], v[16:17] glc
	v_and_b32_e32 v53, 64, v86
	s_and_not1_b32 s31, s31, exec_lo
	s_mov_b32 s34, exec_lo
	s_delay_alu instid0(VALU_DEP_1)
	v_cmpx_eq_u32_e32 0, v53
	s_cbranch_execz .LBB4_515
; %bb.517:                              ;   in Loop: Header=BB4_516 Depth=4
	v_add_nc_u32_e32 v53, 1, v52
	s_mov_b32 s36, -1
	s_mov_b32 s35, exec_lo
	v_cmpx_lt_i32_e32 0x270e, v52
	s_cbranch_execz .LBB4_514
; %bb.518:                              ;   in Loop: Header=BB4_516 Depth=4
	s_cbranch_execnz .LBB4_821
; %bb.519:                              ;   in Loop: Header=BB4_516 Depth=4
	ds_load_b64 v[52:53], v0
	s_mov_b32 s37, exec_lo
	s_waitcnt vmcnt(0) lgkmcnt(0)
	s_waitcnt_vscnt null, 0x0
	flat_load_b32 v52, v[52:53] glc
	s_waitcnt vmcnt(0) lgkmcnt(0)
	buffer_gl1_inv
	buffer_gl0_inv
	v_cmpx_ne_u32_e32 0, v52
	s_cbranch_execz .LBB4_513
; %bb.520:                              ;   in Loop: Header=BB4_516 Depth=4
	ds_store_b32 v0, v52
	s_cbranch_execnz .LBB4_861
; %bb.521:                              ;   in Loop: Header=BB4_516 Depth=4
	v_or_b32_e32 v86, 64, v86
	s_xor_b32 s36, exec_lo, -1
	s_branch .LBB4_513
.LBB4_522:                              ;   in Loop: Header=BB4_507 Depth=3
	s_or_b32 exec_lo, exec_lo, s30
	v_and_b32_e32 v52, 4, v86
.LBB4_523:                              ;   in Loop: Header=BB4_507 Depth=3
	s_or_b32 exec_lo, exec_lo, s12
	s_delay_alu instid0(VALU_DEP_1)
	v_cmp_eq_u32_e32 vcc_lo, 0, v52
	;;#ASMSTART
	s_wakeup
	;;#ASMEND
	s_or_not1_b32 s12, vcc_lo, exec_lo
.LBB4_524:                              ;   in Loop: Header=BB4_507 Depth=3
	s_or_b32 exec_lo, exec_lo, s11
	s_xor_b32 s11, s12, -1
	s_delay_alu instid0(SALU_CYCLE_1)
	s_and_saveexec_b32 s12, s11
	s_cbranch_execz .LBB4_534
; %bb.525:                              ;   in Loop: Header=BB4_507 Depth=3
	v_and_b32_e32 v8, 0x100, v86
	v_and_b32_e32 v66, 7, v18
	s_mov_b32 s11, -1
	s_delay_alu instid0(VALU_DEP_2)
	v_cmp_ne_u32_e32 vcc_lo, 0, v8
                                        ; implicit-def: $vgpr8_vgpr9
	s_and_saveexec_b32 s30, vcc_lo
	s_cbranch_execz .LBB4_529
; %bb.526:                              ;   in Loop: Header=BB4_507 Depth=3
	v_mad_u64_u32 v[52:53], null, v66, 24, v[4:5]
	flat_load_b32 v8, v[52:53]
	s_waitcnt vmcnt(0) lgkmcnt(0)
	v_cmp_ne_u32_e32 vcc_lo, 1, v8
	v_cmp_eq_u32_e64 s11, 1, v8
                                        ; implicit-def: $vgpr8_vgpr9
	s_delay_alu instid0(VALU_DEP_1)
	s_and_saveexec_b32 s31, s11
	s_cbranch_execz .LBB4_528
; %bb.527:                              ;   in Loop: Header=BB4_507 Depth=3
	flat_load_b32 v8, v[52:53] offset:4 glc
	s_waitcnt vmcnt(0) lgkmcnt(0)
	v_ashrrev_i32_e32 v9, 31, v8
.LBB4_528:                              ;   in Loop: Header=BB4_507 Depth=3
	s_or_b32 exec_lo, exec_lo, s31
	s_delay_alu instid0(SALU_CYCLE_1)
	s_or_not1_b32 s11, vcc_lo, exec_lo
.LBB4_529:                              ;   in Loop: Header=BB4_507 Depth=3
	s_or_b32 exec_lo, exec_lo, s30
	s_and_saveexec_b32 vcc_lo, s11
; %bb.530:                              ;   in Loop: Header=BB4_507 Depth=3
	v_mad_i64_i32 v[8:9], null, v66, v87, 0
; %bb.531:                              ;   in Loop: Header=BB4_507 Depth=3
	s_or_b32 exec_lo, exec_lo, vcc_lo
	s_delay_alu instid0(VALU_DEP_1) | instskip(SKIP_1) | instid1(VALU_DEP_3)
	v_add_co_u32 v8, vcc_lo, v20, v8
	v_and_b32_e32 v52, 0x2000, v86
	v_add_co_ci_u32_e32 v9, vcc_lo, v21, v9, vcc_lo
	s_mov_b32 s11, exec_lo
	ds_store_b64 v0, v[8:9] offset:720
	v_cmpx_ne_u32_e32 0, v52
	s_cbranch_execz .LBB4_533
; %bb.532:                              ;   in Loop: Header=BB4_507 Depth=3
	ds_load_b64 v[8:9], v0 offset:584
	s_waitcnt lgkmcnt(0)
	v_add_co_u32 v8, vcc_lo, v8, 1
	v_add_co_ci_u32_e32 v9, vcc_lo, 0, v9, vcc_lo
	ds_store_b64 v0, v[8:9] offset:584
.LBB4_533:                              ;   in Loop: Header=BB4_507 Depth=3
	s_or_b32 exec_lo, exec_lo, s11
	v_add_co_u32 v18, vcc_lo, v18, 2
	v_add_co_ci_u32_e32 v19, vcc_lo, 0, v19, vcc_lo
.LBB4_534:                              ;   in Loop: Header=BB4_507 Depth=3
	s_or_b32 exec_lo, exec_lo, s12
	s_and_saveexec_b32 s11, s4
	s_cbranch_execz .LBB4_556
; %bb.535:                              ;   in Loop: Header=BB4_507 Depth=3
	s_and_saveexec_b32 s12, s5
	s_delay_alu instid0(SALU_CYCLE_1)
	s_xor_b32 s12, exec_lo, s12
	s_cbranch_execz .LBB4_553
; %bb.536:                              ;   in Loop: Header=BB4_507 Depth=3
	s_and_saveexec_b32 s30, s2
	s_cbranch_execz .LBB4_552
; %bb.537:                              ;   in Loop: Header=BB4_507 Depth=3
	s_mov_b32 s34, exec_lo
	s_mov_b32 s31, exec_lo
	v_mbcnt_lo_u32_b32 v8, s34, 0
	s_waitcnt lgkmcnt(0)
	s_waitcnt_vscnt null, 0x0
	buffer_gl1_inv
	buffer_gl0_inv
	v_cmpx_eq_u32_e32 0, v8
	s_cbranch_execz .LBB4_539
; %bb.538:                              ;   in Loop: Header=BB4_507 Depth=3
	s_bcnt1_i32_b32 vcc_lo, s34
	s_delay_alu instid0(SALU_CYCLE_1)
	v_dual_mov_b32 v9, v26 :: v_dual_mov_b32 v8, vcc_lo
	ds_add_u64 v0, v[8:9]
	s_cbranch_execnz .LBB4_881
.LBB4_539:                              ;   in Loop: Header=BB4_507 Depth=3
	s_or_b32 exec_lo, exec_lo, s31
	s_cbranch_execnz .LBB4_865
; %bb.540:                              ;   in Loop: Header=BB4_507 Depth=3
	ds_load_b64 v[8:9], v0
	v_add_co_u32 v10, vcc_lo, v10, v98
	v_add_co_ci_u32_e32 v11, vcc_lo, 0, v11, vcc_lo
	s_mov_b32 s31, exec_lo
	s_waitcnt lgkmcnt(0)
	s_delay_alu instid0(VALU_DEP_1)
	v_cmpx_lt_u64_e64 v[8:9], v[10:11]
	s_cbranch_execz .LBB4_551
; %bb.541:                              ;   in Loop: Header=BB4_507 Depth=3
	s_mov_b32 s34, 0
	s_mov_b32 s37, 0
                                        ; implicit-def: $sgpr35
                                        ; implicit-def: $sgpr36
	s_branch .LBB4_543
.LBB4_542:                              ;   in Loop: Header=BB4_543 Depth=4
	s_or_b32 exec_lo, exec_lo, s39
	s_delay_alu instid0(SALU_CYCLE_1) | instskip(NEXT) | instid1(SALU_CYCLE_1)
	s_and_b32 vcc_lo, exec_lo, vcc_lo
	s_or_b32 s34, vcc_lo, s34
	s_and_not1_b32 vcc_lo, s35, exec_lo
	s_and_b32 s35, s36, exec_lo
	s_delay_alu instid0(SALU_CYCLE_1)
	s_or_b32 s35, vcc_lo, s35
	s_and_not1_b32 exec_lo, exec_lo, s34
	s_cbranch_execz .LBB4_549
.LBB4_543:                              ;   Parent Loop BB4_65 Depth=1
                                        ;     Parent Loop BB4_101 Depth=2
                                        ;       Parent Loop BB4_507 Depth=3
                                        ; =>      This Inner Loop Header: Depth=4
	s_add_i32 s37, s37, 1
                                        ; implicit-def: $sgpr39
	s_delay_alu instid0(SALU_CYCLE_1) | instskip(SKIP_1) | instid1(SALU_CYCLE_1)
	s_cmpk_lg_i32 s37, 0x2710
	s_cselect_b32 s38, -1, 0
	s_and_b32 vcc_lo, exec_lo, s38
	s_cbranch_vccz .LBB4_547
.LBB4_544:                              ;   in Loop: Header=BB4_543 Depth=4
	s_and_not1_b32 s36, s36, exec_lo
	s_and_b32 s39, s39, exec_lo
	s_mov_b32 vcc_lo, -1
	s_or_b32 s36, s36, s39
	s_and_saveexec_b32 s39, s38
	s_cbranch_execz .LBB4_542
; %bb.545:                              ;   in Loop: Header=BB4_543 Depth=4
	s_sleep 1
	s_cbranch_execnz .LBB4_905
; %bb.546:                              ;   in Loop: Header=BB4_543 Depth=4
	ds_load_b64 v[8:9], v0
	s_and_not1_b32 s36, s36, exec_lo
	s_waitcnt lgkmcnt(0)
	v_cmp_ge_u64_e32 vcc_lo, v[8:9], v[10:11]
	s_or_not1_b32 vcc_lo, vcc_lo, exec_lo
	s_branch .LBB4_542
.LBB4_547:                              ;   in Loop: Header=BB4_543 Depth=4
	s_cbranch_execnz .LBB4_917
; %bb.548:                              ;   in Loop: Header=BB4_543 Depth=4
	ds_load_b64 v[8:9], v0
	s_and_not1_b32 s38, s38, exec_lo
	s_mov_b32 s37, 0
	s_mov_b32 s39, -1
	s_waitcnt lgkmcnt(0)
	flat_load_b32 v8, v[8:9] glc
	s_waitcnt vmcnt(0) lgkmcnt(0)
	buffer_gl1_inv
	buffer_gl0_inv
	v_cmp_eq_u32_e32 vcc_lo, 0, v8
	s_and_b32 vcc_lo, vcc_lo, exec_lo
	s_delay_alu instid0(SALU_CYCLE_1)
	s_or_b32 s38, s38, vcc_lo
	s_branch .LBB4_544
.LBB4_549:                              ;   in Loop: Header=BB4_507 Depth=3
	s_or_b32 exec_lo, exec_lo, s34
	s_and_saveexec_b32 vcc_lo, s35
	s_delay_alu instid0(SALU_CYCLE_1)
	s_xor_b32 vcc_lo, exec_lo, vcc_lo
	s_cbranch_execz .LBB4_551
; %bb.550:                              ;   in Loop: Header=BB4_507 Depth=3
	ds_store_b32 v0, v119
	s_cbranch_execnz .LBB4_969
.LBB4_551:                              ;   in Loop: Header=BB4_507 Depth=3
	s_or_b32 exec_lo, exec_lo, s31
	;;#ASMSTART
	s_wakeup
	;;#ASMEND
.LBB4_552:                              ;   in Loop: Header=BB4_507 Depth=3
	s_or_b32 exec_lo, exec_lo, s30
.LBB4_553:                              ;   in Loop: Header=BB4_507 Depth=3
	s_and_not1_saveexec_b32 s12, s12
	s_cbranch_execz .LBB4_555
; %bb.554:                              ;   in Loop: Header=BB4_507 Depth=3
	s_waitcnt lgkmcnt(0)
	s_waitcnt_vscnt null, 0x0
	buffer_gl1_inv
	buffer_gl0_inv
	s_barrier
.LBB4_555:                              ;   in Loop: Header=BB4_507 Depth=3
	s_or_b32 exec_lo, exec_lo, s12
.LBB4_556:                              ;   in Loop: Header=BB4_507 Depth=3
	s_delay_alu instid0(SALU_CYCLE_1)
	s_or_b32 exec_lo, exec_lo, s11
	s_cbranch_execnz .LBB4_791
; %bb.557:                              ;   in Loop: Header=BB4_507 Depth=3
	ds_load_b32 v8, v0
	v_and_b32_e32 v9, 0x4000, v86
	s_xor_b32 s11, s3, -1
	s_delay_alu instid0(VALU_DEP_1) | instskip(SKIP_1) | instid1(SALU_CYCLE_1)
	v_cmp_ne_u32_e32 vcc_lo, 0, v9
	s_and_b32 s12, s11, vcc_lo
	s_and_saveexec_b32 s11, s12
	s_cbranch_execz .LBB4_579
; %bb.558:                              ;   in Loop: Header=BB4_507 Depth=3
	s_and_saveexec_b32 s12, s5
	s_delay_alu instid0(SALU_CYCLE_1)
	s_xor_b32 s12, exec_lo, s12
	s_cbranch_execz .LBB4_576
; %bb.559:                              ;   in Loop: Header=BB4_507 Depth=3
	s_and_saveexec_b32 s30, s2
	s_cbranch_execz .LBB4_575
; %bb.560:                              ;   in Loop: Header=BB4_507 Depth=3
	s_mov_b32 s34, exec_lo
	s_mov_b32 s31, exec_lo
	v_mbcnt_lo_u32_b32 v9, s34, 0
	s_waitcnt lgkmcnt(0)
	s_waitcnt_vscnt null, 0x0
	buffer_gl1_inv
	buffer_gl0_inv
	v_cmpx_eq_u32_e32 0, v9
	s_cbranch_execz .LBB4_562
; %bb.561:                              ;   in Loop: Header=BB4_507 Depth=3
	s_bcnt1_i32_b32 vcc_lo, s34
	s_delay_alu instid0(SALU_CYCLE_1)
	v_dual_mov_b32 v53, v26 :: v_dual_mov_b32 v52, vcc_lo
	ds_add_u64 v0, v[52:53]
	s_cbranch_execnz .LBB4_899
.LBB4_562:                              ;   in Loop: Header=BB4_507 Depth=3
	s_or_b32 exec_lo, exec_lo, s31
	s_cbranch_execnz .LBB4_891
; %bb.563:                              ;   in Loop: Header=BB4_507 Depth=3
	ds_load_b64 v[52:53], v0
	v_add_co_u32 v10, vcc_lo, v10, v98
	v_add_co_ci_u32_e32 v11, vcc_lo, 0, v11, vcc_lo
	s_mov_b32 s31, exec_lo
	s_waitcnt lgkmcnt(0)
	s_delay_alu instid0(VALU_DEP_1)
	v_cmpx_lt_u64_e64 v[52:53], v[10:11]
	s_cbranch_execz .LBB4_574
; %bb.564:                              ;   in Loop: Header=BB4_507 Depth=3
	s_mov_b32 s34, 0
	s_mov_b32 s37, 0
                                        ; implicit-def: $sgpr35
                                        ; implicit-def: $sgpr36
	s_branch .LBB4_566
.LBB4_565:                              ;   in Loop: Header=BB4_566 Depth=4
	s_or_b32 exec_lo, exec_lo, s39
	s_delay_alu instid0(SALU_CYCLE_1) | instskip(NEXT) | instid1(SALU_CYCLE_1)
	s_and_b32 vcc_lo, exec_lo, vcc_lo
	s_or_b32 s34, vcc_lo, s34
	s_and_not1_b32 vcc_lo, s35, exec_lo
	s_and_b32 s35, s36, exec_lo
	s_delay_alu instid0(SALU_CYCLE_1)
	s_or_b32 s35, vcc_lo, s35
	s_and_not1_b32 exec_lo, exec_lo, s34
	s_cbranch_execz .LBB4_572
.LBB4_566:                              ;   Parent Loop BB4_65 Depth=1
                                        ;     Parent Loop BB4_101 Depth=2
                                        ;       Parent Loop BB4_507 Depth=3
                                        ; =>      This Inner Loop Header: Depth=4
	s_add_i32 s37, s37, 1
                                        ; implicit-def: $sgpr39
	s_delay_alu instid0(SALU_CYCLE_1) | instskip(SKIP_1) | instid1(SALU_CYCLE_1)
	s_cmpk_lg_i32 s37, 0x2710
	s_cselect_b32 s38, -1, 0
	s_and_b32 vcc_lo, exec_lo, s38
	s_cbranch_vccz .LBB4_570
.LBB4_567:                              ;   in Loop: Header=BB4_566 Depth=4
	s_and_not1_b32 s36, s36, exec_lo
	s_and_b32 s39, s39, exec_lo
	s_mov_b32 vcc_lo, -1
	s_or_b32 s36, s36, s39
	s_and_saveexec_b32 s39, s38
	s_cbranch_execz .LBB4_565
; %bb.568:                              ;   in Loop: Header=BB4_566 Depth=4
	s_sleep 1
	s_cbranch_execnz .LBB4_933
; %bb.569:                              ;   in Loop: Header=BB4_566 Depth=4
	ds_load_b64 v[52:53], v0
	s_and_not1_b32 s36, s36, exec_lo
	s_waitcnt lgkmcnt(0)
	v_cmp_ge_u64_e32 vcc_lo, v[52:53], v[10:11]
	s_or_not1_b32 vcc_lo, vcc_lo, exec_lo
	s_branch .LBB4_565
.LBB4_570:                              ;   in Loop: Header=BB4_566 Depth=4
	s_cbranch_execnz .LBB4_941
; %bb.571:                              ;   in Loop: Header=BB4_566 Depth=4
	ds_load_b64 v[52:53], v0
	s_and_not1_b32 s38, s38, exec_lo
	s_mov_b32 s37, 0
	s_mov_b32 s39, -1
	s_waitcnt lgkmcnt(0)
	flat_load_b32 v9, v[52:53] glc
	s_waitcnt vmcnt(0) lgkmcnt(0)
	buffer_gl1_inv
	buffer_gl0_inv
	v_cmp_eq_u32_e32 vcc_lo, 0, v9
	s_and_b32 vcc_lo, vcc_lo, exec_lo
	s_delay_alu instid0(SALU_CYCLE_1)
	s_or_b32 s38, s38, vcc_lo
	s_branch .LBB4_567
.LBB4_572:                              ;   in Loop: Header=BB4_507 Depth=3
	s_or_b32 exec_lo, exec_lo, s34
	s_and_saveexec_b32 vcc_lo, s35
	s_delay_alu instid0(SALU_CYCLE_1)
	s_xor_b32 vcc_lo, exec_lo, vcc_lo
	s_cbranch_execz .LBB4_574
; %bb.573:                              ;   in Loop: Header=BB4_507 Depth=3
	ds_store_b32 v0, v119
	s_cbranch_execnz .LBB4_977
.LBB4_574:                              ;   in Loop: Header=BB4_507 Depth=3
	s_or_b32 exec_lo, exec_lo, s31
	;;#ASMSTART
	s_wakeup
	;;#ASMEND
.LBB4_575:                              ;   in Loop: Header=BB4_507 Depth=3
	s_or_b32 exec_lo, exec_lo, s30
.LBB4_576:                              ;   in Loop: Header=BB4_507 Depth=3
	s_and_not1_saveexec_b32 s12, s12
	s_cbranch_execz .LBB4_578
; %bb.577:                              ;   in Loop: Header=BB4_507 Depth=3
	s_waitcnt lgkmcnt(0)
	s_waitcnt_vscnt null, 0x0
	buffer_gl1_inv
	buffer_gl0_inv
	s_barrier
.LBB4_578:                              ;   in Loop: Header=BB4_507 Depth=3
	s_or_b32 exec_lo, exec_lo, s12
.LBB4_579:                              ;   in Loop: Header=BB4_507 Depth=3
	s_delay_alu instid0(SALU_CYCLE_1)
	s_or_b32 exec_lo, exec_lo, s11
	s_cbranch_execnz .LBB4_823
; %bb.580:                              ;   in Loop: Header=BB4_507 Depth=3
	ds_load_b64 v[52:53], v0
	v_sub_nc_u32_e32 v9, v27, v55
	v_mov_b32_e32 v66, 0
	s_delay_alu instid0(VALU_DEP_2) | instskip(SKIP_3) | instid1(SALU_CYCLE_1)
	v_min_i32_e32 v54, v54, v9
	s_waitcnt lgkmcnt(0)
	v_cmp_eq_u64_e32 vcc_lo, 0, v[52:53]
	s_or_b32 s11, vcc_lo, vcc_lo
	s_and_b32 vcc_lo, exec_lo, s11
	s_cbranch_vccnz .LBB4_614
; %bb.581:                              ;   in Loop: Header=BB4_507 Depth=3
	s_mov_b32 s11, -1
	s_and_saveexec_b32 s12, s6
	s_cbranch_execz .LBB4_583
; %bb.582:                              ;   in Loop: Header=BB4_507 Depth=3
	ds_load_b32 v9, v0 offset:720
	s_waitcnt lgkmcnt(0)
	v_and_b32_e32 v9, 15, v9
	s_delay_alu instid0(VALU_DEP_1)
	v_cmp_eq_u32_e32 vcc_lo, 0, v9
	s_or_not1_b32 s11, vcc_lo, exec_lo
.LBB4_583:                              ;   in Loop: Header=BB4_507 Depth=3
	s_or_b32 exec_lo, exec_lo, s12
	s_and_saveexec_b32 s12, s1
	s_cbranch_execz .LBB4_585
; %bb.584:                              ;   in Loop: Header=BB4_507 Depth=3
	ds_load_b32 v9, v0 offset:784
	s_waitcnt lgkmcnt(0)
	v_and_b32_e32 v9, 15, v9
	s_delay_alu instid0(VALU_DEP_1) | instskip(SKIP_3) | instid1(SALU_CYCLE_1)
	v_cmp_eq_u32_e32 vcc_lo, 0, v9
	s_and_b32 vcc_lo, s11, vcc_lo
	s_and_not1_b32 s11, s11, exec_lo
	s_and_b32 vcc_lo, vcc_lo, exec_lo
	s_or_b32 s11, s11, vcc_lo
.LBB4_585:                              ;   in Loop: Header=BB4_507 Depth=3
	s_or_b32 exec_lo, exec_lo, s12
	v_cmp_eq_u32_e32 vcc_lo, 0, v8
	s_xor_b32 s11, s11, -1
	v_mov_b32_e32 v80, v35
	v_cndmask_b32_e64 v9, 0, 1, s11
	;;#ASMSTART
	;;#ASMEND
	v_dual_cndmask_b32 v66, 0, v54 :: v_dual_mov_b32 v67, 0
	s_delay_alu instid0(VALU_DEP_2) | instskip(SKIP_1) | instid1(VALU_DEP_2)
	v_cmp_ne_u32_e32 vcc_lo, 0, v9
	s_mov_b32 s11, -1
	v_dual_mov_b32 v69, v0 :: v_dual_mov_b32 v68, v66
	s_cbranch_vccnz .LBB4_601
; %bb.586:                              ;   in Loop: Header=BB4_507 Depth=3
	v_ashrrev_i32_e32 v8, 31, v66
	s_mov_b32 s12, exec_lo
	s_delay_alu instid0(VALU_DEP_1) | instskip(NEXT) | instid1(VALU_DEP_1)
	v_lshrrev_b32_e32 v8, 21, v8
	v_add_nc_u32_e32 v8, v66, v8
	s_delay_alu instid0(VALU_DEP_1) | instskip(NEXT) | instid1(VALU_DEP_1)
	v_ashrrev_i32_e32 v67, 11, v8
	v_sub_nc_u32_e32 v70, v67, v35
	s_delay_alu instid0(VALU_DEP_1)
	v_cmpx_lt_i32_e32 0, v70
	s_cbranch_execz .LBB4_591
; %bb.587:                              ;   in Loop: Header=BB4_507 Depth=3
	s_cbranch_execnz .LBB4_921
; %bb.588:                              ;   in Loop: Header=BB4_507 Depth=3
	ds_load_b64 v[8:9], v0
	s_mov_b32 s30, 0
	s_waitcnt lgkmcnt(0)
	v_dual_mov_b32 v53, v9 :: v_dual_mov_b32 v52, v8
	s_set_inst_prefetch_distance 0x1
.LBB4_589:                              ;   Parent Loop BB4_65 Depth=1
                                        ;     Parent Loop BB4_101 Depth=2
                                        ;       Parent Loop BB4_507 Depth=3
                                        ; =>      This Inner Loop Header: Depth=4
	s_delay_alu instid0(VALU_DEP_1) | instskip(NEXT) | instid1(VALU_DEP_2)
	v_add_co_u32 v68, vcc_lo, v99, v52
	v_add_co_ci_u32_e32 v69, vcc_lo, v101, v53, vcc_lo
	v_sub_nc_u32_e32 v70, v70, v98
	s_clause 0x3
	global_load_b128 v[80:83], v[68:69], off slc dlc
	global_load_b128 v[132:135], v[68:69], off offset:512 slc dlc
	global_load_b128 v[144:147], v[68:69], off offset:1024 slc dlc
	;; [unrolled: 1-line block ×3, first 2 shown]
	v_add_co_u32 v68, vcc_lo, v99, v8
	v_add_co_ci_u32_e32 v69, vcc_lo, v101, v9, vcc_lo
	v_add_co_u32 v52, vcc_lo, v52, v102
	v_add_co_ci_u32_e32 v53, vcc_lo, v53, v103, vcc_lo
	v_add_co_u32 v8, vcc_lo, v8, v102
	v_cmp_gt_i32_e64 s11, 1, v70
	v_add_co_ci_u32_e32 v9, vcc_lo, v9, v103, vcc_lo
	s_waitcnt vmcnt(3)
	global_store_b128 v[68:69], v[80:83], off glc slc dlc
	s_waitcnt vmcnt(2)
	global_store_b128 v[68:69], v[132:135], off offset:512 glc slc dlc
	s_waitcnt vmcnt(1)
	global_store_b128 v[68:69], v[144:147], off offset:1024 glc slc dlc
	;; [unrolled: 2-line block ×3, first 2 shown]
	s_or_b32 s30, s11, s30
	s_delay_alu instid0(SALU_CYCLE_1)
	s_and_not1_b32 exec_lo, exec_lo, s30
	s_cbranch_execnz .LBB4_589
; %bb.590:                              ;   in Loop: Header=BB4_507 Depth=3
	s_set_inst_prefetch_distance 0x2
	s_or_b32 exec_lo, exec_lo, s30
.LBB4_591:                              ;   in Loop: Header=BB4_507 Depth=3
	s_delay_alu instid0(SALU_CYCLE_1) | instskip(SKIP_3) | instid1(VALU_DEP_1)
	s_or_b32 exec_lo, exec_lo, s12
	v_dual_mov_b32 v67, 0 :: v_dual_lshlrev_b32 v52, 11, v67
	s_mov_b32 s11, 0
	s_mov_b32 s30, exec_lo
                                        ; implicit-def: $vgpr68
                                        ; implicit-def: $vgpr69
                                        ; implicit-def: $vgpr80
	v_cmpx_ne_u32_e64 v66, v52
	s_cbranch_execz .LBB4_600
; %bb.592:                              ;   in Loop: Header=BB4_507 Depth=3
	v_lshlrev_b32_e32 v8, 5, v70
	v_sub_nc_u32_e32 v67, v66, v52
	s_mov_b32 s31, exec_lo
	s_delay_alu instid0(VALU_DEP_2) | instskip(NEXT) | instid1(VALU_DEP_2)
	v_sub_nc_u32_e32 v8, v96, v8
	v_ashrrev_i32_e32 v53, 31, v67
	s_delay_alu instid0(VALU_DEP_2) | instskip(NEXT) | instid1(VALU_DEP_2)
	v_ashrrev_i32_e32 v9, 31, v8
	v_lshrrev_b32_e32 v53, 23, v53
	s_delay_alu instid0(VALU_DEP_2) | instskip(NEXT) | instid1(VALU_DEP_2)
	v_lshrrev_b32_e32 v9, 27, v9
	v_add_nc_u32_e32 v69, v67, v53
	s_delay_alu instid0(VALU_DEP_2) | instskip(NEXT) | instid1(VALU_DEP_2)
	v_add_nc_u32_e32 v9, v8, v9
	v_and_b32_e32 v53, 0xfffffe00, v69
	v_ashrrev_i32_e32 v69, 9, v69
	s_delay_alu instid0(VALU_DEP_3) | instskip(NEXT) | instid1(VALU_DEP_3)
	v_and_b32_e32 v68, 0xffffffe0, v9
	v_sub_nc_u32_e32 v71, v67, v53
	s_delay_alu instid0(VALU_DEP_2) | instskip(SKIP_1) | instid1(VALU_DEP_3)
	v_sub_nc_u32_e32 v70, v8, v68
	v_ashrrev_i32_e32 v8, 5, v9
	v_cmp_lt_i32_e32 vcc_lo, 15, v71
	s_delay_alu instid0(VALU_DEP_3) | instskip(NEXT) | instid1(VALU_DEP_1)
	v_lshlrev_b32_e32 v9, 4, v70
	v_lshl_add_u32 v68, v8, 9, v9
	v_add_co_ci_u32_e64 v9, s11, 0, v69, vcc_lo
	s_delay_alu instid0(VALU_DEP_2) | instskip(NEXT) | instid1(VALU_DEP_2)
	v_sub_nc_u32_e32 v67, v67, v68
	v_sub_nc_u32_e32 v81, v9, v8
	s_delay_alu instid0(VALU_DEP_2)
	v_cmpx_lt_i32_e32 15, v67
	s_cbranch_execz .LBB4_597
; %bb.593:                              ;   in Loop: Header=BB4_507 Depth=3
	s_cbranch_execnz .LBB4_949
; %bb.594:                              ;   in Loop: Header=BB4_507 Depth=3
	ds_load_b64 v[8:9], v0
	v_add_nc_u32_e32 v68, v68, v52
	s_mov_b32 s34, 0
	s_delay_alu instid0(VALU_DEP_1)
	v_ashrrev_i32_e32 v69, 31, v68
.LBB4_595:                              ;   Parent Loop BB4_65 Depth=1
                                        ;     Parent Loop BB4_101 Depth=2
                                        ;       Parent Loop BB4_507 Depth=3
                                        ; =>      This Inner Loop Header: Depth=4
	s_waitcnt lgkmcnt(0)
	v_add_co_u32 v82, s11, v8, v68
	s_delay_alu instid0(VALU_DEP_1)
	v_add_co_ci_u32_e64 v83, s11, v9, v69, s11
	v_sub_nc_u32_e32 v67, v67, v100
	v_add_co_u32 v68, s12, v68, v112
	global_load_b128 v[132:135], v[82:83], off slc dlc
	v_sub_nc_u32_e32 v81, v81, v98
	v_cmp_gt_i32_e64 s11, 16, v67
	v_add_co_ci_u32_e64 v69, s12, v69, v113, s12
	s_delay_alu instid0(VALU_DEP_2)
	s_or_b32 s34, s11, s34
	s_waitcnt vmcnt(0)
	global_store_b128 v[82:83], v[132:135], off glc slc dlc
	s_and_not1_b32 exec_lo, exec_lo, s34
	s_cbranch_execnz .LBB4_595
; %bb.596:                              ;   in Loop: Header=BB4_507 Depth=3
	s_or_b32 exec_lo, exec_lo, s34
.LBB4_597:                              ;   in Loop: Header=BB4_507 Depth=3
	s_delay_alu instid0(SALU_CYCLE_1) | instskip(SKIP_3) | instid1(VALU_DEP_1)
	s_or_b32 exec_lo, exec_lo, s31
	v_dual_mov_b32 v67, 0 :: v_dual_and_b32 v8, 15, v66
	s_mov_b32 s12, 0
	s_mov_b32 s31, exec_lo
                                        ; implicit-def: $vgpr69
                                        ; implicit-def: $vgpr80
	v_cndmask_b32_e32 v68, v71, v8, vcc_lo
	s_delay_alu instid0(VALU_DEP_1)
	v_cmpx_ne_u32_e32 0, v68
; %bb.598:                              ;   in Loop: Header=BB4_507 Depth=3
	v_cmp_lt_i32_e64 s11, 0, v81
	v_sub_nc_u32_e32 v8, v71, v8
	s_mov_b32 s12, exec_lo
	s_delay_alu instid0(VALU_DEP_2) | instskip(NEXT) | instid1(VALU_DEP_1)
	v_cndmask_b32_e64 v9, 0, v98, s11
	v_sub_nc_u32_e32 v9, v9, v81
	s_delay_alu instid0(VALU_DEP_1) | instskip(NEXT) | instid1(VALU_DEP_1)
	v_lshl_add_u32 v69, v9, 5, v70
	v_ashrrev_i32_e32 v9, 31, v69
	s_delay_alu instid0(VALU_DEP_1) | instskip(NEXT) | instid1(VALU_DEP_1)
	v_lshrrev_b32_e32 v9, 27, v9
	v_dual_cndmask_b32 v8, 0, v8 :: v_dual_add_nc_u32 v9, v69, v9
	s_delay_alu instid0(VALU_DEP_1) | instskip(NEXT) | instid1(VALU_DEP_2)
	v_add3_u32 v67, v53, v52, v8
	v_ashrrev_i32_e32 v80, 5, v9
; %bb.599:                              ;   in Loop: Header=BB4_507 Depth=3
	s_or_b32 exec_lo, exec_lo, s31
	s_delay_alu instid0(SALU_CYCLE_1)
	s_and_b32 s11, s12, exec_lo
.LBB4_600:                              ;   in Loop: Header=BB4_507 Depth=3
	s_or_b32 exec_lo, exec_lo, s30
.LBB4_601:                              ;   in Loop: Header=BB4_507 Depth=3
	s_and_saveexec_b32 s12, s11
	s_cbranch_execz .LBB4_613
; %bb.602:                              ;   in Loop: Header=BB4_507 Depth=3
	s_delay_alu instid0(VALU_DEP_1) | instskip(SKIP_1) | instid1(VALU_DEP_1)
	v_ashrrev_i32_e32 v8, 31, v68
	s_mov_b32 s11, exec_lo
	v_lshrrev_b32_e32 v8, 23, v8
	s_delay_alu instid0(VALU_DEP_1) | instskip(NEXT) | instid1(VALU_DEP_1)
	v_add_nc_u32_e32 v8, v68, v8
	v_ashrrev_i32_e32 v71, 9, v8
	s_delay_alu instid0(VALU_DEP_1) | instskip(NEXT) | instid1(VALU_DEP_1)
	v_sub_nc_u32_e32 v70, v71, v80
	v_cmpx_lt_i32_e32 0, v70
	s_cbranch_execz .LBB4_607
; %bb.603:                              ;   in Loop: Header=BB4_507 Depth=3
	s_cbranch_execnz .LBB4_911
; %bb.604:                              ;   in Loop: Header=BB4_507 Depth=3
	v_ashrrev_i32_e32 v8, 31, v69
	s_mov_b32 s30, 0
	s_delay_alu instid0(VALU_DEP_1) | instskip(NEXT) | instid1(VALU_DEP_1)
	v_lshrrev_b32_e32 v8, 27, v8
	v_add_nc_u32_e32 v52, v69, v8
	ds_load_b64 v[8:9], v0
	v_lshlrev_b32_e32 v53, 9, v80
	v_and_b32_e32 v52, 0xffffffe0, v52
	s_delay_alu instid0(VALU_DEP_1) | instskip(NEXT) | instid1(VALU_DEP_1)
	v_sub_nc_u32_e32 v52, v69, v52
	v_add3_u32 v80, v67, v52, v53
	s_delay_alu instid0(VALU_DEP_1)
	v_ashrrev_i32_e32 v81, 31, v80
	s_waitcnt lgkmcnt(0)
	v_dual_mov_b32 v53, v9 :: v_dual_mov_b32 v52, v8
.LBB4_605:                              ;   Parent Loop BB4_65 Depth=1
                                        ;     Parent Loop BB4_101 Depth=2
                                        ;       Parent Loop BB4_507 Depth=3
                                        ; =>      This Inner Loop Header: Depth=4
	s_delay_alu instid0(VALU_DEP_1) | instskip(NEXT) | instid1(VALU_DEP_2)
	v_add_co_u32 v82, vcc_lo, v80, v52
	v_add_co_ci_u32_e32 v83, vcc_lo, v81, v53, vcc_lo
	v_sub_nc_u32_e32 v70, v70, v98
	s_clause 0xf
	flat_load_u8 v84, v[82:83] slc dlc
	flat_load_u8 v132, v[82:83] offset:32 slc dlc
	flat_load_u8 v133, v[82:83] offset:64 slc dlc
	;; [unrolled: 1-line block ×15, first 2 shown]
	v_add_co_u32 v82, vcc_lo, v80, v8
	v_add_co_ci_u32_e32 v83, vcc_lo, v81, v9, vcc_lo
	v_add_co_u32 v52, vcc_lo, v52, v112
	v_add_co_ci_u32_e32 v53, vcc_lo, v53, v113, vcc_lo
	;; [unrolled: 2-line block ×3, first 2 shown]
	v_cmp_gt_i32_e32 vcc_lo, 1, v70
	s_waitcnt vmcnt(15) lgkmcnt(15)
	flat_store_b8 v[82:83], v84 glc slc dlc
	s_waitcnt vmcnt(14) lgkmcnt(15)
	flat_store_b8 v[82:83], v132 offset:32 glc slc dlc
	s_waitcnt vmcnt(13) lgkmcnt(15)
	flat_store_b8 v[82:83], v133 offset:64 glc slc dlc
	;; [unrolled: 2-line block ×15, first 2 shown]
	s_or_b32 s30, vcc_lo, s30
	s_delay_alu instid0(SALU_CYCLE_1)
	s_and_not1_b32 exec_lo, exec_lo, s30
	s_cbranch_execnz .LBB4_605
; %bb.606:                              ;   in Loop: Header=BB4_507 Depth=3
	s_or_b32 exec_lo, exec_lo, s30
.LBB4_607:                              ;   in Loop: Header=BB4_507 Depth=3
	s_delay_alu instid0(SALU_CYCLE_1) | instskip(SKIP_2) | instid1(VALU_DEP_1)
	s_or_b32 exec_lo, exec_lo, s11
	v_lshlrev_b32_e32 v8, 9, v71
	s_mov_b32 s30, exec_lo
	v_cmpx_ne_u32_e64 v68, v8
	s_cbranch_execz .LBB4_612
; %bb.608:                              ;   in Loop: Header=BB4_507 Depth=3
	v_ashrrev_i32_e32 v9, 31, v69
	v_lshlrev_b32_e32 v52, 5, v70
	s_delay_alu instid0(VALU_DEP_2) | instskip(NEXT) | instid1(VALU_DEP_1)
	v_lshrrev_b32_e32 v9, 27, v9
	v_add_nc_u32_e32 v9, v69, v9
	s_delay_alu instid0(VALU_DEP_1) | instskip(NEXT) | instid1(VALU_DEP_1)
	v_and_b32_e32 v9, 0xffffffe0, v9
	v_sub_nc_u32_e32 v9, v69, v9
	s_delay_alu instid0(VALU_DEP_1) | instskip(NEXT) | instid1(VALU_DEP_1)
	v_sub_nc_u32_e32 v9, v9, v52
	v_add_nc_u32_e32 v53, v8, v9
	s_delay_alu instid0(VALU_DEP_1) | instskip(NEXT) | instid1(VALU_DEP_1)
	v_sub_nc_u32_e32 v52, v68, v53
	v_cmp_lt_i32_e32 vcc_lo, 0, v52
	s_and_b32 exec_lo, exec_lo, vcc_lo
	s_cbranch_execz .LBB4_612
; %bb.609:                              ;   in Loop: Header=BB4_507 Depth=3
	s_cbranch_execnz .LBB4_945
; %bb.610:                              ;   in Loop: Header=BB4_507 Depth=3
	ds_load_b64 v[8:9], v0
	v_add_nc_u32_e32 v53, v53, v67
	s_mov_b32 s31, 0
	s_delay_alu instid0(VALU_DEP_1)
	v_ashrrev_i32_e32 v67, 31, v53
.LBB4_611:                              ;   Parent Loop BB4_65 Depth=1
                                        ;     Parent Loop BB4_101 Depth=2
                                        ;       Parent Loop BB4_507 Depth=3
                                        ; =>      This Inner Loop Header: Depth=4
	s_waitcnt lgkmcnt(0)
	v_add_co_u32 v68, vcc_lo, v8, v53
	s_delay_alu instid0(VALU_DEP_2)
	v_add_co_ci_u32_e32 v69, vcc_lo, v9, v67, vcc_lo
	v_sub_nc_u32_e32 v52, v52, v114
	v_add_co_u32 v53, s11, v53, v114
	flat_load_u8 v70, v[68:69] slc dlc
	v_add_co_ci_u32_e64 v67, s11, v67, v115, s11
	v_cmp_gt_i32_e32 vcc_lo, 1, v52
	s_or_b32 s31, vcc_lo, s31
	s_waitcnt vmcnt(0) lgkmcnt(0)
	flat_store_b8 v[68:69], v70 glc slc dlc
	s_and_not1_b32 exec_lo, exec_lo, s31
	s_cbranch_execnz .LBB4_611
.LBB4_612:                              ;   in Loop: Header=BB4_507 Depth=3
	s_or_b32 exec_lo, exec_lo, s30
.LBB4_613:                              ;   in Loop: Header=BB4_507 Depth=3
	s_delay_alu instid0(SALU_CYCLE_1)
	s_or_b32 exec_lo, exec_lo, s12
.LBB4_614:                              ;   in Loop: Header=BB4_507 Depth=3
	s_and_saveexec_b32 s11, s4
	s_cbranch_execz .LBB4_636
; %bb.615:                              ;   in Loop: Header=BB4_507 Depth=3
	s_and_saveexec_b32 s12, s5
	s_delay_alu instid0(SALU_CYCLE_1)
	s_xor_b32 s12, exec_lo, s12
	s_cbranch_execz .LBB4_633
; %bb.616:                              ;   in Loop: Header=BB4_507 Depth=3
	s_and_saveexec_b32 s30, s2
	s_cbranch_execz .LBB4_632
; %bb.617:                              ;   in Loop: Header=BB4_507 Depth=3
	s_mov_b32 s34, exec_lo
	s_mov_b32 s31, exec_lo
	v_mbcnt_lo_u32_b32 v8, s34, 0
	s_waitcnt lgkmcnt(0)
	s_waitcnt_vscnt null, 0x0
	buffer_gl1_inv
	buffer_gl0_inv
	v_cmpx_eq_u32_e32 0, v8
	s_cbranch_execz .LBB4_619
; %bb.618:                              ;   in Loop: Header=BB4_507 Depth=3
	s_bcnt1_i32_b32 vcc_lo, s34
	s_delay_alu instid0(SALU_CYCLE_1)
	v_dual_mov_b32 v9, v26 :: v_dual_mov_b32 v8, vcc_lo
	ds_add_u64 v0, v[8:9]
	s_cbranch_execnz .LBB4_935
.LBB4_619:                              ;   in Loop: Header=BB4_507 Depth=3
	s_or_b32 exec_lo, exec_lo, s31
	s_cbranch_execnz .LBB4_927
; %bb.620:                              ;   in Loop: Header=BB4_507 Depth=3
	ds_load_b64 v[8:9], v0
	v_add_co_u32 v10, vcc_lo, v10, v98
	v_add_co_ci_u32_e32 v11, vcc_lo, 0, v11, vcc_lo
	s_mov_b32 s31, exec_lo
	s_waitcnt lgkmcnt(0)
	s_delay_alu instid0(VALU_DEP_1)
	v_cmpx_lt_u64_e64 v[8:9], v[10:11]
	s_cbranch_execz .LBB4_631
; %bb.621:                              ;   in Loop: Header=BB4_507 Depth=3
	s_mov_b32 s34, 0
	s_mov_b32 s37, 0
                                        ; implicit-def: $sgpr35
                                        ; implicit-def: $sgpr36
	s_branch .LBB4_623
.LBB4_622:                              ;   in Loop: Header=BB4_623 Depth=4
	s_or_b32 exec_lo, exec_lo, s39
	s_delay_alu instid0(SALU_CYCLE_1) | instskip(NEXT) | instid1(SALU_CYCLE_1)
	s_and_b32 vcc_lo, exec_lo, vcc_lo
	s_or_b32 s34, vcc_lo, s34
	s_and_not1_b32 vcc_lo, s35, exec_lo
	s_and_b32 s35, s36, exec_lo
	s_delay_alu instid0(SALU_CYCLE_1)
	s_or_b32 s35, vcc_lo, s35
	s_and_not1_b32 exec_lo, exec_lo, s34
	s_cbranch_execz .LBB4_629
.LBB4_623:                              ;   Parent Loop BB4_65 Depth=1
                                        ;     Parent Loop BB4_101 Depth=2
                                        ;       Parent Loop BB4_507 Depth=3
                                        ; =>      This Inner Loop Header: Depth=4
	s_add_i32 s37, s37, 1
                                        ; implicit-def: $sgpr39
	s_delay_alu instid0(SALU_CYCLE_1) | instskip(SKIP_1) | instid1(SALU_CYCLE_1)
	s_cmpk_lg_i32 s37, 0x2710
	s_cselect_b32 s38, -1, 0
	s_and_b32 vcc_lo, exec_lo, s38
	s_cbranch_vccnz .LBB4_626
; %bb.624:                              ;   in Loop: Header=BB4_623 Depth=4
	s_cbranch_execnz .LBB4_961
; %bb.625:                              ;   in Loop: Header=BB4_623 Depth=4
	ds_load_b64 v[8:9], v0
	s_and_not1_b32 s38, s38, exec_lo
	s_mov_b32 s37, 0
	s_mov_b32 s39, -1
	s_waitcnt lgkmcnt(0)
	flat_load_b32 v8, v[8:9] glc
	s_waitcnt vmcnt(0) lgkmcnt(0)
	buffer_gl1_inv
	buffer_gl0_inv
	v_cmp_eq_u32_e32 vcc_lo, 0, v8
	s_and_b32 vcc_lo, vcc_lo, exec_lo
	s_delay_alu instid0(SALU_CYCLE_1)
	s_or_b32 s38, s38, vcc_lo
.LBB4_626:                              ;   in Loop: Header=BB4_623 Depth=4
	s_and_not1_b32 s36, s36, exec_lo
	s_and_b32 s39, s39, exec_lo
	s_mov_b32 vcc_lo, -1
	s_or_b32 s36, s36, s39
	s_and_saveexec_b32 s39, s38
	s_cbranch_execz .LBB4_622
; %bb.627:                              ;   in Loop: Header=BB4_623 Depth=4
	s_sleep 1
	s_cbranch_execnz .LBB4_955
; %bb.628:                              ;   in Loop: Header=BB4_623 Depth=4
	ds_load_b64 v[8:9], v0
	s_and_not1_b32 s36, s36, exec_lo
	s_waitcnt lgkmcnt(0)
	v_cmp_ge_u64_e32 vcc_lo, v[8:9], v[10:11]
	s_or_not1_b32 vcc_lo, vcc_lo, exec_lo
	s_branch .LBB4_622
.LBB4_629:                              ;   in Loop: Header=BB4_507 Depth=3
	s_or_b32 exec_lo, exec_lo, s34
	s_and_saveexec_b32 vcc_lo, s35
	s_delay_alu instid0(SALU_CYCLE_1)
	s_xor_b32 vcc_lo, exec_lo, vcc_lo
	s_cbranch_execz .LBB4_631
; %bb.630:                              ;   in Loop: Header=BB4_507 Depth=3
	ds_store_b32 v0, v119
	s_cbranch_execnz .LBB4_981
.LBB4_631:                              ;   in Loop: Header=BB4_507 Depth=3
	s_or_b32 exec_lo, exec_lo, s31
	;;#ASMSTART
	s_wakeup
	;;#ASMEND
.LBB4_632:                              ;   in Loop: Header=BB4_507 Depth=3
	s_or_b32 exec_lo, exec_lo, s30
.LBB4_633:                              ;   in Loop: Header=BB4_507 Depth=3
	s_and_not1_saveexec_b32 s12, s12
	s_cbranch_execz .LBB4_635
; %bb.634:                              ;   in Loop: Header=BB4_507 Depth=3
	s_waitcnt lgkmcnt(0)
	s_waitcnt_vscnt null, 0x0
	buffer_gl1_inv
	buffer_gl0_inv
	s_barrier
.LBB4_635:                              ;   in Loop: Header=BB4_507 Depth=3
	s_or_b32 exec_lo, exec_lo, s12
.LBB4_636:                              ;   in Loop: Header=BB4_507 Depth=3
	s_delay_alu instid0(SALU_CYCLE_1) | instskip(SKIP_2) | instid1(VALU_DEP_2)
	s_or_b32 exec_lo, exec_lo, s11
	v_and_b32_e32 v8, 16, v86
	v_cmp_lt_i32_e32 vcc_lo, 0, v66
	v_cmp_ne_u32_e64 s11, 0, v8
	s_delay_alu instid0(VALU_DEP_1) | instskip(NEXT) | instid1(SALU_CYCLE_1)
	s_and_b32 s12, s11, vcc_lo
	s_and_saveexec_b32 s11, s12
	s_cbranch_execz .LBB4_638
; %bb.637:                              ;   in Loop: Header=BB4_507 Depth=3
	s_waitcnt lgkmcnt(0)
	s_waitcnt_vscnt null, 0x0
	buffer_gl1_inv
	buffer_gl0_inv
.LBB4_638:                              ;   in Loop: Header=BB4_507 Depth=3
	s_or_b32 exec_lo, exec_lo, s11
	v_and_b32_e32 v8, 32, v86
	s_mov_b32 s11, exec_lo
	s_delay_alu instid0(VALU_DEP_1)
	v_cmpx_ne_u32_e32 0, v8
	s_cbranch_execz .LBB4_640
; %bb.639:                              ;   in Loop: Header=BB4_507 Depth=3
	v_add_co_u32 v18, vcc_lo, v18, 2
	v_add_co_ci_u32_e32 v19, vcc_lo, 0, v19, vcc_lo
	s_waitcnt lgkmcnt(0)
	s_waitcnt_vscnt null, 0x0
	flat_store_b64 v[16:17], v[18:19]
.LBB4_640:                              ;   in Loop: Header=BB4_507 Depth=3
	s_or_b32 exec_lo, exec_lo, s11
	v_add_nc_u32_e32 v55, v54, v55
	s_xor_b32 s11, s29, -1
	s_mov_b32 s29, 0
	s_delay_alu instid0(VALU_DEP_1) | instskip(SKIP_4) | instid1(SALU_CYCLE_1)
	v_cmp_ge_i32_e32 vcc_lo, v55, v27
	v_mov_b32_e32 v8, vcc_hi
	s_or_b32 s11, s11, vcc_lo
	s_mov_b32 vcc_hi, 2
	s_and_b32 s11, exec_lo, s11
	s_or_b32 s28, s11, s28
	s_delay_alu instid0(SALU_CYCLE_1)
	s_and_not1_b32 exec_lo, exec_lo, s28
	s_cbranch_execnz .LBB4_507
; %bb.641:                              ;   in Loop: Header=BB4_101 Depth=2
	s_or_b32 exec_lo, exec_lo, s28
.LBB4_642:                              ;   in Loop: Header=BB4_101 Depth=2
	s_delay_alu instid0(SALU_CYCLE_1) | instskip(NEXT) | instid1(SALU_CYCLE_1)
	s_or_b32 exec_lo, exec_lo, s27
	s_mov_b32 s12, exec_lo
	v_cmpx_gt_i32_e32 2, v8
	s_cbranch_execz .LBB4_697
; %bb.643:                              ;   in Loop: Header=BB4_101 Depth=2
	v_cmp_eq_u32_e64 s11, 0, v8
	s_mov_b32 s27, 0
.LBB4_644:                              ;   Parent Loop BB4_65 Depth=1
                                        ;     Parent Loop BB4_101 Depth=2
                                        ; =>    This Loop Header: Depth=3
                                        ;         Child Loop BB4_650 Depth 4
                                        ;         Child Loop BB4_677 Depth 4
	v_and_b32_e32 v8, 4, v86
	s_mov_b32 s29, -1
	s_mov_b32 s28, exec_lo
	s_delay_alu instid0(VALU_DEP_1)
	v_cmpx_ne_u32_e32 0, v8
	s_cbranch_execz .LBB4_658
; %bb.645:                              ;   in Loop: Header=BB4_644 Depth=3
	v_add_co_u32 v8, vcc_lo, v18, 2
	v_add_co_ci_u32_e32 v9, vcc_lo, 0, v19, vcc_lo
	v_mov_b32_e32 v52, 1
	s_mov_b32 s29, exec_lo
	s_delay_alu instid0(VALU_DEP_2)
	v_cmpx_lt_u64_e64 v[22:23], v[8:9]
	s_cbranch_execz .LBB4_657
; %bb.646:                              ;   in Loop: Header=BB4_644 Depth=3
	v_mov_b32_e32 v52, 0
	s_mov_b32 vcc_hi, 0
                                        ; implicit-def: $sgpr30
	s_branch .LBB4_650
.LBB4_647:                              ;   in Loop: Header=BB4_650 Depth=4
	s_or_b32 exec_lo, exec_lo, s36
	v_mov_b32_e32 v53, 0
	s_or_not1_b32 s35, s35, exec_lo
.LBB4_648:                              ;   in Loop: Header=BB4_650 Depth=4
	s_or_b32 exec_lo, exec_lo, s34
	s_delay_alu instid0(VALU_DEP_1) | instskip(SKIP_2) | instid1(SALU_CYCLE_1)
	v_mov_b32_e32 v52, v53
	s_and_not1_b32 vcc_lo, s30, exec_lo
	s_and_b32 s30, s35, exec_lo
	s_or_b32 s30, vcc_lo, s30
.LBB4_649:                              ;   in Loop: Header=BB4_650 Depth=4
	s_or_b32 exec_lo, exec_lo, s31
	s_waitcnt vmcnt(0) lgkmcnt(0)
	v_cmp_ge_u64_e32 vcc_lo, v[22:23], v[8:9]
	s_xor_b32 s31, s30, -1
	s_delay_alu instid0(SALU_CYCLE_1) | instskip(NEXT) | instid1(SALU_CYCLE_1)
	s_or_b32 vcc_lo, s31, vcc_lo
	s_and_b32 vcc_lo, exec_lo, vcc_lo
	s_delay_alu instid0(SALU_CYCLE_1) | instskip(NEXT) | instid1(SALU_CYCLE_1)
	s_or_b32 vcc_hi, vcc_lo, vcc_hi
	s_and_not1_b32 exec_lo, exec_lo, vcc_hi
	s_cbranch_execz .LBB4_656
.LBB4_650:                              ;   Parent Loop BB4_65 Depth=1
                                        ;     Parent Loop BB4_101 Depth=2
                                        ;       Parent Loop BB4_644 Depth=3
                                        ; =>      This Inner Loop Header: Depth=4
	s_sleep 1
	flat_load_b64 v[22:23], v[16:17] glc
	v_and_b32_e32 v53, 64, v86
	s_and_not1_b32 s30, s30, exec_lo
	s_mov_b32 s31, exec_lo
	s_delay_alu instid0(VALU_DEP_1)
	v_cmpx_eq_u32_e32 0, v53
	s_cbranch_execz .LBB4_649
; %bb.651:                              ;   in Loop: Header=BB4_650 Depth=4
	v_add_nc_u32_e32 v53, 1, v52
	s_mov_b32 s35, -1
	s_mov_b32 s34, exec_lo
	v_cmpx_lt_i32_e32 0x270e, v52
	s_cbranch_execz .LBB4_648
; %bb.652:                              ;   in Loop: Header=BB4_650 Depth=4
	s_cbranch_execnz .LBB4_825
; %bb.653:                              ;   in Loop: Header=BB4_650 Depth=4
	ds_load_b64 v[52:53], v0
	s_mov_b32 s36, exec_lo
	s_waitcnt vmcnt(0) lgkmcnt(0)
	s_waitcnt_vscnt null, 0x0
	flat_load_b32 v52, v[52:53] glc
	s_waitcnt vmcnt(0) lgkmcnt(0)
	buffer_gl1_inv
	buffer_gl0_inv
	v_cmpx_ne_u32_e32 0, v52
	s_cbranch_execz .LBB4_647
; %bb.654:                              ;   in Loop: Header=BB4_650 Depth=4
	ds_store_b32 v0, v52
	s_cbranch_execnz .LBB4_863
; %bb.655:                              ;   in Loop: Header=BB4_650 Depth=4
	v_or_b32_e32 v86, 64, v86
	s_xor_b32 s35, exec_lo, -1
	s_branch .LBB4_647
.LBB4_656:                              ;   in Loop: Header=BB4_644 Depth=3
	s_or_b32 exec_lo, exec_lo, vcc_hi
	v_and_b32_e32 v52, 4, v86
.LBB4_657:                              ;   in Loop: Header=BB4_644 Depth=3
	s_or_b32 exec_lo, exec_lo, s29
	s_delay_alu instid0(VALU_DEP_1)
	v_cmp_eq_u32_e32 vcc_lo, 0, v52
	;;#ASMSTART
	s_wakeup
	;;#ASMEND
	s_or_not1_b32 s29, vcc_lo, exec_lo
.LBB4_658:                              ;   in Loop: Header=BB4_644 Depth=3
	s_or_b32 exec_lo, exec_lo, s28
	s_xor_b32 s11, s11, -1
	s_delay_alu instid0(SALU_CYCLE_1) | instskip(NEXT) | instid1(SALU_CYCLE_1)
	s_and_b32 s11, exec_lo, s11
	s_or_b32 s27, s11, s27
	s_xor_b32 s11, s29, -1
	s_delay_alu instid0(SALU_CYCLE_1)
	s_and_saveexec_b32 s28, s11
	s_cbranch_execz .LBB4_668
; %bb.659:                              ;   in Loop: Header=BB4_644 Depth=3
	v_and_b32_e32 v8, 0x100, v86
	v_and_b32_e32 v64, 7, v18
	s_mov_b32 s11, -1
	s_delay_alu instid0(VALU_DEP_2)
	v_cmp_ne_u32_e32 vcc_lo, 0, v8
                                        ; implicit-def: $vgpr8_vgpr9
	s_and_saveexec_b32 s29, vcc_lo
	s_cbranch_execz .LBB4_663
; %bb.660:                              ;   in Loop: Header=BB4_644 Depth=3
	v_mad_u64_u32 v[52:53], null, v64, 24, v[4:5]
	flat_load_b32 v8, v[52:53]
	s_waitcnt vmcnt(0) lgkmcnt(0)
	v_cmp_ne_u32_e32 vcc_lo, 1, v8
	v_cmp_eq_u32_e64 s11, 1, v8
                                        ; implicit-def: $vgpr8_vgpr9
	s_delay_alu instid0(VALU_DEP_1)
	s_and_saveexec_b32 vcc_hi, s11
	s_cbranch_execz .LBB4_662
; %bb.661:                              ;   in Loop: Header=BB4_644 Depth=3
	flat_load_b32 v8, v[52:53] offset:4 glc
	s_waitcnt vmcnt(0) lgkmcnt(0)
	v_ashrrev_i32_e32 v9, 31, v8
.LBB4_662:                              ;   in Loop: Header=BB4_644 Depth=3
	s_or_b32 exec_lo, exec_lo, vcc_hi
	s_delay_alu instid0(SALU_CYCLE_1)
	s_or_not1_b32 s11, vcc_lo, exec_lo
.LBB4_663:                              ;   in Loop: Header=BB4_644 Depth=3
	s_or_b32 exec_lo, exec_lo, s29
	s_and_saveexec_b32 s29, s11
; %bb.664:                              ;   in Loop: Header=BB4_644 Depth=3
	v_mad_i64_i32 v[8:9], null, v64, v87, 0
; %bb.665:                              ;   in Loop: Header=BB4_644 Depth=3
	s_or_b32 exec_lo, exec_lo, s29
	s_delay_alu instid0(VALU_DEP_1) | instskip(SKIP_1) | instid1(VALU_DEP_3)
	v_add_co_u32 v8, vcc_lo, v20, v8
	v_and_b32_e32 v52, 0x2000, v86
	v_add_co_ci_u32_e32 v9, vcc_lo, v21, v9, vcc_lo
	s_mov_b32 s11, exec_lo
	ds_store_b64 v0, v[8:9] offset:720
	v_cmpx_ne_u32_e32 0, v52
	s_cbranch_execz .LBB4_667
; %bb.666:                              ;   in Loop: Header=BB4_644 Depth=3
	ds_load_b64 v[8:9], v0 offset:584
	s_waitcnt lgkmcnt(0)
	v_add_co_u32 v8, vcc_lo, v8, 1
	v_add_co_ci_u32_e32 v9, vcc_lo, 0, v9, vcc_lo
	ds_store_b64 v0, v[8:9] offset:584
.LBB4_667:                              ;   in Loop: Header=BB4_644 Depth=3
	s_or_b32 exec_lo, exec_lo, s11
	v_add_co_u32 v18, vcc_lo, v18, 2
	v_add_co_ci_u32_e32 v19, vcc_lo, 0, v19, vcc_lo
.LBB4_668:                              ;   in Loop: Header=BB4_644 Depth=3
	s_or_b32 exec_lo, exec_lo, s28
	s_and_saveexec_b32 s11, s4
	s_cbranch_execz .LBB4_690
; %bb.669:                              ;   in Loop: Header=BB4_644 Depth=3
	s_and_saveexec_b32 s28, s5
	s_delay_alu instid0(SALU_CYCLE_1)
	s_xor_b32 s28, exec_lo, s28
	s_cbranch_execz .LBB4_687
; %bb.670:                              ;   in Loop: Header=BB4_644 Depth=3
	s_and_saveexec_b32 s29, s2
	s_cbranch_execz .LBB4_686
; %bb.671:                              ;   in Loop: Header=BB4_644 Depth=3
	s_mov_b32 s30, exec_lo
	s_mov_b32 vcc_hi, exec_lo
	v_mbcnt_lo_u32_b32 v8, s30, 0
	s_waitcnt lgkmcnt(0)
	s_waitcnt_vscnt null, 0x0
	buffer_gl1_inv
	buffer_gl0_inv
	v_cmpx_eq_u32_e32 0, v8
	s_cbranch_execz .LBB4_673
; %bb.672:                              ;   in Loop: Header=BB4_644 Depth=3
	s_bcnt1_i32_b32 vcc_lo, s30
	s_delay_alu instid0(SALU_CYCLE_1)
	v_dual_mov_b32 v9, v26 :: v_dual_mov_b32 v8, vcc_lo
	ds_add_u64 v0, v[8:9]
	s_cbranch_execnz .LBB4_885
.LBB4_673:                              ;   in Loop: Header=BB4_644 Depth=3
	s_or_b32 exec_lo, exec_lo, vcc_hi
	s_cbranch_execnz .LBB4_869
; %bb.674:                              ;   in Loop: Header=BB4_644 Depth=3
	ds_load_b64 v[8:9], v0
	v_add_co_u32 v10, vcc_lo, v10, v98
	v_add_co_ci_u32_e32 v11, vcc_lo, 0, v11, vcc_lo
	s_mov_b32 vcc_hi, exec_lo
	s_waitcnt lgkmcnt(0)
	s_delay_alu instid0(VALU_DEP_1)
	v_cmpx_lt_u64_e64 v[8:9], v[10:11]
	s_cbranch_execz .LBB4_685
; %bb.675:                              ;   in Loop: Header=BB4_644 Depth=3
	s_mov_b32 s30, 0
	s_mov_b32 s35, 0
                                        ; implicit-def: $sgpr31
                                        ; implicit-def: $sgpr34
	s_branch .LBB4_677
.LBB4_676:                              ;   in Loop: Header=BB4_677 Depth=4
	s_or_b32 exec_lo, exec_lo, s37
	s_delay_alu instid0(SALU_CYCLE_1) | instskip(NEXT) | instid1(SALU_CYCLE_1)
	s_and_b32 vcc_lo, exec_lo, vcc_lo
	s_or_b32 s30, vcc_lo, s30
	s_and_not1_b32 vcc_lo, s31, exec_lo
	s_and_b32 s31, s34, exec_lo
	s_delay_alu instid0(SALU_CYCLE_1)
	s_or_b32 s31, vcc_lo, s31
	s_and_not1_b32 exec_lo, exec_lo, s30
	s_cbranch_execz .LBB4_683
.LBB4_677:                              ;   Parent Loop BB4_65 Depth=1
                                        ;     Parent Loop BB4_101 Depth=2
                                        ;       Parent Loop BB4_644 Depth=3
                                        ; =>      This Inner Loop Header: Depth=4
	s_add_i32 s35, s35, 1
                                        ; implicit-def: $sgpr37
	s_delay_alu instid0(SALU_CYCLE_1) | instskip(SKIP_1) | instid1(SALU_CYCLE_1)
	s_cmpk_lg_i32 s35, 0x2710
	s_cselect_b32 s36, -1, 0
	s_and_b32 vcc_lo, exec_lo, s36
	s_cbranch_vccz .LBB4_681
.LBB4_678:                              ;   in Loop: Header=BB4_677 Depth=4
	s_and_not1_b32 s34, s34, exec_lo
	s_and_b32 s37, s37, exec_lo
	s_mov_b32 vcc_lo, -1
	s_or_b32 s34, s34, s37
	s_and_saveexec_b32 s37, s36
	s_cbranch_execz .LBB4_676
; %bb.679:                              ;   in Loop: Header=BB4_677 Depth=4
	s_sleep 1
	s_cbranch_execnz .LBB4_909
; %bb.680:                              ;   in Loop: Header=BB4_677 Depth=4
	ds_load_b64 v[8:9], v0
	s_and_not1_b32 s34, s34, exec_lo
	s_waitcnt lgkmcnt(0)
	v_cmp_ge_u64_e32 vcc_lo, v[8:9], v[10:11]
	s_or_not1_b32 vcc_lo, vcc_lo, exec_lo
	s_branch .LBB4_676
.LBB4_681:                              ;   in Loop: Header=BB4_677 Depth=4
	s_cbranch_execnz .LBB4_923
; %bb.682:                              ;   in Loop: Header=BB4_677 Depth=4
	ds_load_b64 v[8:9], v0
	s_and_not1_b32 s36, s36, exec_lo
	s_mov_b32 s35, 0
	s_mov_b32 s37, -1
	s_waitcnt lgkmcnt(0)
	flat_load_b32 v8, v[8:9] glc
	s_waitcnt vmcnt(0) lgkmcnt(0)
	buffer_gl1_inv
	buffer_gl0_inv
	v_cmp_eq_u32_e32 vcc_lo, 0, v8
	s_and_b32 vcc_lo, vcc_lo, exec_lo
	s_delay_alu instid0(SALU_CYCLE_1)
	s_or_b32 s36, s36, vcc_lo
	s_branch .LBB4_678
.LBB4_683:                              ;   in Loop: Header=BB4_644 Depth=3
	s_or_b32 exec_lo, exec_lo, s30
	s_and_saveexec_b32 vcc_lo, s31
	s_delay_alu instid0(SALU_CYCLE_1)
	s_xor_b32 vcc_lo, exec_lo, vcc_lo
	s_cbranch_execz .LBB4_685
; %bb.684:                              ;   in Loop: Header=BB4_644 Depth=3
	ds_store_b32 v0, v119
	s_cbranch_execnz .LBB4_973
.LBB4_685:                              ;   in Loop: Header=BB4_644 Depth=3
	s_or_b32 exec_lo, exec_lo, vcc_hi
	;;#ASMSTART
	s_wakeup
	;;#ASMEND
.LBB4_686:                              ;   in Loop: Header=BB4_644 Depth=3
	s_or_b32 exec_lo, exec_lo, s29
.LBB4_687:                              ;   in Loop: Header=BB4_644 Depth=3
	s_and_not1_saveexec_b32 s28, s28
	s_cbranch_execz .LBB4_689
; %bb.688:                              ;   in Loop: Header=BB4_644 Depth=3
	s_waitcnt lgkmcnt(0)
	s_waitcnt_vscnt null, 0x0
	buffer_gl1_inv
	buffer_gl0_inv
	s_barrier
.LBB4_689:                              ;   in Loop: Header=BB4_644 Depth=3
	s_or_b32 exec_lo, exec_lo, s28
.LBB4_690:                              ;   in Loop: Header=BB4_644 Depth=3
	s_delay_alu instid0(SALU_CYCLE_1)
	s_or_b32 exec_lo, exec_lo, s11
	s_cbranch_execnz .LBB4_799
; %bb.691:                              ;   in Loop: Header=BB4_644 Depth=3
	ds_load_b32 v8, v0
	v_sub_nc_u32_e32 v9, v27, v55
	s_delay_alu instid0(VALU_DEP_1) | instskip(NEXT) | instid1(VALU_DEP_1)
	v_min_i32_e32 v54, v54, v9
	v_cmp_lt_i32_e32 vcc_lo, 0, v54
	s_waitcnt lgkmcnt(0)
	v_readfirstlane_b32 s11, v8
	v_and_b32_e32 v8, 16, v86
	s_delay_alu instid0(VALU_DEP_2) | instskip(NEXT) | instid1(VALU_DEP_1)
	s_cmp_eq_u32 s11, 0
	v_cmp_ne_u32_e64 s11, 0, v8
	s_cselect_b32 s28, -1, 0
	s_delay_alu instid0(SALU_CYCLE_1)
	s_and_b32 s28, vcc_lo, s28
	s_delay_alu instid0(VALU_DEP_1) | instid1(SALU_CYCLE_1)
	s_and_b32 s28, s11, s28
	s_delay_alu instid0(SALU_CYCLE_1)
	s_and_saveexec_b32 s11, s28
	s_cbranch_execz .LBB4_693
; %bb.692:                              ;   in Loop: Header=BB4_644 Depth=3
	s_waitcnt_vscnt null, 0x0
	buffer_gl1_inv
	buffer_gl0_inv
.LBB4_693:                              ;   in Loop: Header=BB4_644 Depth=3
	s_or_b32 exec_lo, exec_lo, s11
	v_and_b32_e32 v8, 32, v86
	s_mov_b32 s11, exec_lo
	s_delay_alu instid0(VALU_DEP_1)
	v_cmpx_ne_u32_e32 0, v8
	s_cbranch_execz .LBB4_695
; %bb.694:                              ;   in Loop: Header=BB4_644 Depth=3
	v_add_co_u32 v18, vcc_lo, v18, 2
	v_add_co_ci_u32_e32 v19, vcc_lo, 0, v19, vcc_lo
	s_waitcnt_vscnt null, 0x0
	flat_store_b64 v[16:17], v[18:19]
.LBB4_695:                              ;   in Loop: Header=BB4_644 Depth=3
	s_or_b32 exec_lo, exec_lo, s11
	v_add_nc_u32_e32 v55, v54, v55
	s_mov_b32 s11, 0
	s_and_not1_b32 exec_lo, exec_lo, s27
	s_cbranch_execnz .LBB4_644
; %bb.696:                              ;   in Loop: Header=BB4_101 Depth=2
	s_or_b32 exec_lo, exec_lo, s27
.LBB4_697:                              ;   in Loop: Header=BB4_101 Depth=2
	s_delay_alu instid0(SALU_CYCLE_1) | instskip(SKIP_2) | instid1(VALU_DEP_1)
	s_or_b32 exec_lo, exec_lo, s12
	v_add_co_u32 v6, vcc_lo, v6, v32
	v_add_co_ci_u32_e32 v7, vcc_lo, 0, v7, vcc_lo
	v_cmp_ge_i64_e32 vcc_lo, v[6:7], v[50:51]
	s_or_b32 s25, vcc_lo, s25
	s_delay_alu instid0(SALU_CYCLE_1)
	s_and_not1_b32 exec_lo, exec_lo, s25
	s_cbranch_execnz .LBB4_101
; %bb.698:                              ;   in Loop: Header=BB4_65 Depth=1
	s_or_b32 exec_lo, exec_lo, s25
.LBB4_699:                              ;   in Loop: Header=BB4_65 Depth=1
	s_delay_alu instid0(SALU_CYCLE_1)
	s_or_b32 exec_lo, exec_lo, s23
.LBB4_700:                              ;   in Loop: Header=BB4_65 Depth=1
	s_delay_alu instid0(SALU_CYCLE_1)
	s_or_b32 exec_lo, exec_lo, s22
	s_add_i32 s11, s14, 1
	s_cmp_eq_u32 s14, s17
	s_cbranch_scc1 .LBB4_716
; %bb.701:                              ;   in Loop: Header=BB4_65 Depth=1
	s_mov_b32 s14, s11
	s_cbranch_execz .LBB4_65
.LBB4_702:
	s_trap 2
	s_sendmsg_rtn_b32 s0, sendmsg(MSG_RTN_GET_DOORBELL)
	s_mov_b32 ttmp2, m0
	s_waitcnt lgkmcnt(0)
	s_and_b32 s0, s0, 0x3ff
	s_delay_alu instid0(SALU_CYCLE_1) | instskip(NEXT) | instid1(SALU_CYCLE_1)
	s_bitset1_b32 s0, 10
	s_mov_b32 m0, s0
	s_sendmsg sendmsg(MSG_INTERRUPT)
	s_mov_b32 m0, ttmp2
.LBB4_703:                              ; =>This Inner Loop Header: Depth=1
	s_sethalt 5
	s_branch .LBB4_703
.LBB4_704:
	s_trap 2
	s_sendmsg_rtn_b32 s0, sendmsg(MSG_RTN_GET_DOORBELL)
	s_mov_b32 ttmp2, m0
	s_waitcnt lgkmcnt(0)
	s_and_b32 s0, s0, 0x3ff
	s_delay_alu instid0(SALU_CYCLE_1) | instskip(NEXT) | instid1(SALU_CYCLE_1)
	s_bitset1_b32 s0, 10
	s_mov_b32 m0, s0
	s_sendmsg sendmsg(MSG_INTERRUPT)
	s_mov_b32 m0, ttmp2
.LBB4_705:                              ; =>This Inner Loop Header: Depth=1
	s_sethalt 5
	s_branch .LBB4_705
.LBB4_706:
	s_trap 2
	s_sendmsg_rtn_b32 s0, sendmsg(MSG_RTN_GET_DOORBELL)
	s_mov_b32 ttmp2, m0
	s_waitcnt lgkmcnt(0)
	s_and_b32 s0, s0, 0x3ff
	s_delay_alu instid0(SALU_CYCLE_1) | instskip(NEXT) | instid1(SALU_CYCLE_1)
	s_bitset1_b32 s0, 10
	s_mov_b32 m0, s0
	s_sendmsg sendmsg(MSG_INTERRUPT)
	s_mov_b32 m0, ttmp2
.LBB4_707:                              ; =>This Inner Loop Header: Depth=1
	s_sethalt 5
	s_branch .LBB4_707
.LBB4_708:
	s_trap 2
	s_sendmsg_rtn_b32 s0, sendmsg(MSG_RTN_GET_DOORBELL)
	s_mov_b32 ttmp2, m0
	s_waitcnt lgkmcnt(0)
	s_and_b32 s0, s0, 0x3ff
	s_delay_alu instid0(SALU_CYCLE_1) | instskip(NEXT) | instid1(SALU_CYCLE_1)
	s_bitset1_b32 s0, 10
	s_mov_b32 m0, s0
	s_sendmsg sendmsg(MSG_INTERRUPT)
	s_mov_b32 m0, ttmp2
.LBB4_709:                              ; =>This Inner Loop Header: Depth=1
	s_sethalt 5
	s_branch .LBB4_709
.LBB4_710:
	s_trap 2
	s_sendmsg_rtn_b32 s0, sendmsg(MSG_RTN_GET_DOORBELL)
	s_mov_b32 ttmp2, m0
	s_waitcnt lgkmcnt(0)
	s_and_b32 s0, s0, 0x3ff
	s_delay_alu instid0(SALU_CYCLE_1) | instskip(NEXT) | instid1(SALU_CYCLE_1)
	s_bitset1_b32 s0, 10
	s_mov_b32 m0, s0
	s_sendmsg sendmsg(MSG_INTERRUPT)
	s_mov_b32 m0, ttmp2
.LBB4_711:                              ; =>This Inner Loop Header: Depth=1
	s_sethalt 5
	s_branch .LBB4_711
.LBB4_712:
	s_trap 2
	s_sendmsg_rtn_b32 s0, sendmsg(MSG_RTN_GET_DOORBELL)
	s_mov_b32 ttmp2, m0
	s_waitcnt lgkmcnt(0)
	s_and_b32 s0, s0, 0x3ff
	s_delay_alu instid0(SALU_CYCLE_1) | instskip(NEXT) | instid1(SALU_CYCLE_1)
	s_bitset1_b32 s0, 10
	s_mov_b32 m0, s0
	s_sendmsg sendmsg(MSG_INTERRUPT)
	s_mov_b32 m0, ttmp2
.LBB4_713:                              ; =>This Inner Loop Header: Depth=1
	s_sethalt 5
	s_branch .LBB4_713
.LBB4_714:
	s_trap 2
	s_sendmsg_rtn_b32 s0, sendmsg(MSG_RTN_GET_DOORBELL)
	s_mov_b32 ttmp2, m0
	s_waitcnt lgkmcnt(0)
	s_and_b32 s0, s0, 0x3ff
	s_delay_alu instid0(SALU_CYCLE_1) | instskip(NEXT) | instid1(SALU_CYCLE_1)
	s_bitset1_b32 s0, 10
	s_mov_b32 m0, s0
	s_sendmsg sendmsg(MSG_INTERRUPT)
	s_mov_b32 m0, ttmp2
.LBB4_715:                              ; =>This Inner Loop Header: Depth=1
	s_sethalt 5
	s_branch .LBB4_715
.LBB4_716:
	v_and_b32_e32 v0, 0x800, v86
	s_mov_b32 s0, exec_lo
	s_delay_alu instid0(VALU_DEP_1)
	v_cmpx_eq_u32_e32 0, v0
	s_cbranch_execz .LBB4_853
; %bb.717:
	v_and_b32_e32 v0, 48, v86
	s_mov_b32 s1, exec_lo
	s_delay_alu instid0(VALU_DEP_1)
	v_cmpx_ne_u32_e32 0, v0
	s_cbranch_execz .LBB4_719
; %bb.718:
	flat_store_b64 v[14:15], v[18:19] offset:104
.LBB4_719:
	s_or_b32 exec_lo, exec_lo, s1
	v_and_b32_e32 v0, 0x88, v86
	s_mov_b32 s1, exec_lo
	s_delay_alu instid0(VALU_DEP_1)
	v_cmpx_eq_u32_e32 0x88, v0
	s_cbranch_execz .LBB4_747
; %bb.720:
	v_add_nc_u32_e32 v0, 6, v18
	s_mov_b32 s2, 0
                                        ; implicit-def: $sgpr3
	s_delay_alu instid0(VALU_DEP_1) | instskip(NEXT) | instid1(VALU_DEP_1)
	v_and_b32_e32 v0, 7, v0
	v_mad_u64_u32 v[2:3], null, v0, 24, v[4:5]
	v_mov_b32_e32 v0, 0
	s_delay_alu instid0(VALU_DEP_2) | instskip(NEXT) | instid1(VALU_DEP_3)
	v_add_co_u32 v2, vcc_lo, v2, 8
	v_add_co_ci_u32_e32 v3, vcc_lo, 0, v3, vcc_lo
	s_branch .LBB4_737
.LBB4_721:
	s_trap 2
	s_sendmsg_rtn_b32 s0, sendmsg(MSG_RTN_GET_DOORBELL)
	s_mov_b32 ttmp2, m0
	s_waitcnt lgkmcnt(0)
	s_and_b32 s0, s0, 0x3ff
	s_delay_alu instid0(SALU_CYCLE_1) | instskip(NEXT) | instid1(SALU_CYCLE_1)
	s_bitset1_b32 s0, 10
	s_mov_b32 m0, s0
	s_sendmsg sendmsg(MSG_INTERRUPT)
	s_mov_b32 m0, ttmp2
.LBB4_722:                              ; =>This Inner Loop Header: Depth=1
	s_sethalt 5
	s_branch .LBB4_722
.LBB4_723:
	s_trap 2
	s_sendmsg_rtn_b32 s0, sendmsg(MSG_RTN_GET_DOORBELL)
	s_mov_b32 ttmp2, m0
	s_waitcnt lgkmcnt(0)
	s_and_b32 s0, s0, 0x3ff
	s_delay_alu instid0(SALU_CYCLE_1) | instskip(NEXT) | instid1(SALU_CYCLE_1)
	s_bitset1_b32 s0, 10
	s_mov_b32 m0, s0
	s_sendmsg sendmsg(MSG_INTERRUPT)
	s_mov_b32 m0, ttmp2
.LBB4_724:                              ; =>This Inner Loop Header: Depth=1
	s_sethalt 5
	s_branch .LBB4_724
.LBB4_725:
	s_trap 2
	s_sendmsg_rtn_b32 s0, sendmsg(MSG_RTN_GET_DOORBELL)
	s_mov_b32 ttmp2, m0
	s_waitcnt lgkmcnt(0)
	s_and_b32 s0, s0, 0x3ff
	s_delay_alu instid0(SALU_CYCLE_1) | instskip(NEXT) | instid1(SALU_CYCLE_1)
	s_bitset1_b32 s0, 10
	s_mov_b32 m0, s0
	s_sendmsg sendmsg(MSG_INTERRUPT)
	s_mov_b32 m0, ttmp2
.LBB4_726:                              ; =>This Inner Loop Header: Depth=1
	s_sethalt 5
	s_branch .LBB4_726
.LBB4_727:
	s_trap 2
	s_sendmsg_rtn_b32 s0, sendmsg(MSG_RTN_GET_DOORBELL)
	s_mov_b32 ttmp2, m0
	s_waitcnt lgkmcnt(0)
	s_and_b32 s0, s0, 0x3ff
	s_delay_alu instid0(SALU_CYCLE_1) | instskip(NEXT) | instid1(SALU_CYCLE_1)
	s_bitset1_b32 s0, 10
	s_mov_b32 m0, s0
	s_sendmsg sendmsg(MSG_INTERRUPT)
	s_mov_b32 m0, ttmp2
.LBB4_728:                              ; =>This Inner Loop Header: Depth=1
	s_sethalt 5
	s_branch .LBB4_728
.LBB4_729:
	s_trap 2
	s_sendmsg_rtn_b32 s0, sendmsg(MSG_RTN_GET_DOORBELL)
	s_mov_b32 ttmp2, m0
	s_waitcnt lgkmcnt(0)
	s_and_b32 s0, s0, 0x3ff
	s_delay_alu instid0(SALU_CYCLE_1) | instskip(NEXT) | instid1(SALU_CYCLE_1)
	s_bitset1_b32 s0, 10
	s_mov_b32 m0, s0
	s_sendmsg sendmsg(MSG_INTERRUPT)
	s_mov_b32 m0, ttmp2
.LBB4_730:                              ; =>This Inner Loop Header: Depth=1
	s_sethalt 5
	s_branch .LBB4_730
.LBB4_731:
	s_trap 2
	s_sendmsg_rtn_b32 s0, sendmsg(MSG_RTN_GET_DOORBELL)
	s_mov_b32 ttmp2, m0
	s_waitcnt lgkmcnt(0)
	s_and_b32 s0, s0, 0x3ff
	s_delay_alu instid0(SALU_CYCLE_1) | instskip(NEXT) | instid1(SALU_CYCLE_1)
	s_bitset1_b32 s0, 10
	s_mov_b32 m0, s0
	s_sendmsg sendmsg(MSG_INTERRUPT)
	s_mov_b32 m0, ttmp2
.LBB4_732:                              ; =>This Inner Loop Header: Depth=1
	s_sethalt 5
	s_branch .LBB4_732
.LBB4_733:                              ;   in Loop: Header=BB4_737 Depth=1
	s_or_b32 exec_lo, exec_lo, s10
	v_mov_b32_e32 v4, 0
	s_or_not1_b32 s7, s7, exec_lo
.LBB4_734:                              ;   in Loop: Header=BB4_737 Depth=1
	s_or_b32 exec_lo, exec_lo, s6
	s_delay_alu instid0(VALU_DEP_1)
	v_mov_b32_e32 v0, v4
	s_and_b32 s6, s7, exec_lo
.LBB4_735:                              ;   in Loop: Header=BB4_737 Depth=1
	s_or_b32 exec_lo, exec_lo, s5
	s_xor_b32 s5, s6, -1
	s_and_not1_b32 s3, s3, exec_lo
	s_and_b32 s5, s5, exec_lo
	s_delay_alu instid0(SALU_CYCLE_1)
	s_or_b32 s3, s3, s5
.LBB4_736:                              ;   in Loop: Header=BB4_737 Depth=1
	s_or_b32 exec_lo, exec_lo, s4
	s_delay_alu instid0(SALU_CYCLE_1) | instskip(NEXT) | instid1(SALU_CYCLE_1)
	s_and_b32 s4, exec_lo, s3
	s_or_b32 s2, s4, s2
	s_delay_alu instid0(SALU_CYCLE_1)
	s_and_not1_b32 exec_lo, exec_lo, s2
	s_cbranch_execz .LBB4_746
.LBB4_737:                              ; =>This Inner Loop Header: Depth=1
	flat_load_b64 v[4:5], v[2:3] glc dlc
	s_waitcnt vmcnt(0)
	s_or_b32 s3, s3, exec_lo
	s_mov_b32 s4, exec_lo
	s_waitcnt lgkmcnt(0)
	v_cmpx_ne_u64_e32 -1, v[4:5]
	s_cbranch_execz .LBB4_736
; %bb.738:                              ;   in Loop: Header=BB4_737 Depth=1
	v_and_b32_e32 v4, 64, v86
	s_mov_b32 s6, 0
	s_mov_b32 s5, exec_lo
	s_delay_alu instid0(VALU_DEP_1)
	v_cmpx_eq_u32_e32 0, v4
	s_cbranch_execz .LBB4_735
; %bb.739:                              ;   in Loop: Header=BB4_737 Depth=1
	v_add_nc_u32_e32 v4, 1, v0
	s_mov_b32 s7, -1
	s_mov_b32 s6, exec_lo
	v_cmpx_lt_i32_e32 0x270e, v0
	s_cbranch_execz .LBB4_734
; %bb.740:                              ;   in Loop: Header=BB4_737 Depth=1
	s_cbranch_execnz .LBB4_744
; %bb.741:                              ;   in Loop: Header=BB4_737 Depth=1
	ds_load_b64 v[4:5], v0
	s_mov_b32 s10, exec_lo
	s_waitcnt lgkmcnt(0)
	s_waitcnt_vscnt null, 0x0
	flat_load_b32 v0, v[4:5] glc
	s_waitcnt vmcnt(0) lgkmcnt(0)
	buffer_gl1_inv
	buffer_gl0_inv
	v_cmpx_ne_u32_e32 0, v0
	s_cbranch_execz .LBB4_733
; %bb.742:                              ;   in Loop: Header=BB4_737 Depth=1
	ds_store_b32 v0, v0
	s_cbranch_execnz .LBB4_760
; %bb.743:                              ;   in Loop: Header=BB4_737 Depth=1
	v_or_b32_e32 v86, 64, v86
	s_xor_b32 s7, exec_lo, -1
	s_branch .LBB4_733
.LBB4_744:
	s_trap 2
	s_sendmsg_rtn_b32 s0, sendmsg(MSG_RTN_GET_DOORBELL)
	s_mov_b32 ttmp2, m0
	s_waitcnt lgkmcnt(0)
	s_and_b32 s0, s0, 0x3ff
	s_delay_alu instid0(SALU_CYCLE_1) | instskip(NEXT) | instid1(SALU_CYCLE_1)
	s_bitset1_b32 s0, 10
	s_mov_b32 m0, s0
	s_sendmsg sendmsg(MSG_INTERRUPT)
	s_mov_b32 m0, ttmp2
.LBB4_745:                              ; =>This Inner Loop Header: Depth=1
	s_sethalt 5
	s_branch .LBB4_745
.LBB4_746:
	s_or_b32 exec_lo, exec_lo, s2
.LBB4_747:
	s_delay_alu instid0(SALU_CYCLE_1) | instskip(SKIP_2) | instid1(VALU_DEP_1)
	s_or_b32 exec_lo, exec_lo, s1
	v_and_b32_e32 v0, 0x2000, v86
	s_mov_b32 s1, exec_lo
	v_cmpx_ne_u32_e32 0, v0
	s_cbranch_execz .LBB4_750
; %bb.748:
	s_cbranch_execnz .LBB4_758
; %bb.749:
	ds_load_b64 v[2:3], v0
	s_waitcnt lgkmcnt(0)
	flat_store_b64 v[12:13], v[2:3] offset:16
.LBB4_750:
	s_or_b32 exec_lo, exec_lo, s1
	v_cmp_ne_u32_e32 vcc_lo, 32, v1
	s_and_b32 exec_lo, exec_lo, vcc_lo
	s_cbranch_execz .LBB4_853
; %bb.751:
	s_mov_b32 s1, exec_lo
	v_cmpx_ne_u32_e64 v30, v1
	s_xor_b32 s1, exec_lo, s1
	s_cbranch_execz .LBB4_851
; %bb.752:
	v_and_b32_e32 v0, 31, v31
	s_mov_b32 s2, exec_lo
	s_delay_alu instid0(VALU_DEP_1)
	v_cmpx_eq_u32_e32 0, v0
	s_cbranch_execz .LBB4_850
; %bb.753:
	s_mov_b32 s4, exec_lo
	s_mov_b32 s3, exec_lo
	v_mbcnt_lo_u32_b32 v0, s4, 0
	s_waitcnt lgkmcnt(0)
	s_waitcnt_vscnt null, 0x0
	buffer_gl1_inv
	buffer_gl0_inv
	v_cmpx_eq_u32_e32 0, v0
	s_cbranch_execz .LBB4_755
; %bb.754:
	s_bcnt1_i32_b32 s4, s4
	s_delay_alu instid0(SALU_CYCLE_1)
	v_dual_mov_b32 v3, 0 :: v_dual_mov_b32 v2, s4
	ds_add_u64 v0, v[2:3]
	s_cbranch_execnz .LBB4_777
.LBB4_755:
	s_or_b32 exec_lo, exec_lo, s3
	s_cbranch_execnz .LBB4_768
; %bb.756:
	v_ashrrev_i32_e32 v0, 31, v1
	s_mov_b32 s3, exec_lo
	s_delay_alu instid0(VALU_DEP_1) | instskip(NEXT) | instid1(VALU_DEP_1)
	v_lshrrev_b32_e32 v0, 27, v0
	v_add_nc_u32_e32 v0, v1, v0
	ds_load_b64 v[2:3], v0
	v_ashrrev_i32_e32 v0, 5, v0
	s_delay_alu instid0(VALU_DEP_1) | instskip(SKIP_1) | instid1(VALU_DEP_2)
	v_ashrrev_i32_e32 v1, 31, v0
	v_add_co_u32 v0, vcc_lo, v10, v0
	v_add_co_ci_u32_e32 v1, vcc_lo, v11, v1, vcc_lo
	s_waitcnt lgkmcnt(0)
	s_delay_alu instid0(VALU_DEP_1)
	v_cmpx_lt_u64_e64 v[2:3], v[0:1]
	s_cbranch_execz .LBB4_849
; %bb.757:
	s_mov_b32 s4, 0
	s_mov_b32 s7, 0
                                        ; implicit-def: $sgpr5
                                        ; implicit-def: $sgpr6
	s_branch .LBB4_771
.LBB4_758:
	s_trap 2
	s_sendmsg_rtn_b32 s0, sendmsg(MSG_RTN_GET_DOORBELL)
	s_mov_b32 ttmp2, m0
	s_waitcnt lgkmcnt(0)
	s_and_b32 s0, s0, 0x3ff
	s_delay_alu instid0(SALU_CYCLE_1) | instskip(NEXT) | instid1(SALU_CYCLE_1)
	s_bitset1_b32 s0, 10
	s_mov_b32 m0, s0
	s_sendmsg sendmsg(MSG_INTERRUPT)
	s_mov_b32 m0, ttmp2
.LBB4_759:                              ; =>This Inner Loop Header: Depth=1
	s_sethalt 5
	s_branch .LBB4_759
.LBB4_760:
	s_trap 2
	s_sendmsg_rtn_b32 s0, sendmsg(MSG_RTN_GET_DOORBELL)
	s_mov_b32 ttmp2, m0
	s_waitcnt lgkmcnt(0)
	s_and_b32 s0, s0, 0x3ff
	s_delay_alu instid0(SALU_CYCLE_1) | instskip(NEXT) | instid1(SALU_CYCLE_1)
	s_bitset1_b32 s0, 10
	s_mov_b32 m0, s0
	s_sendmsg sendmsg(MSG_INTERRUPT)
	s_mov_b32 m0, ttmp2
.LBB4_761:                              ; =>This Inner Loop Header: Depth=1
	s_sethalt 5
	s_branch .LBB4_761
.LBB4_762:
	s_trap 2
	s_sendmsg_rtn_b32 s0, sendmsg(MSG_RTN_GET_DOORBELL)
	s_mov_b32 ttmp2, m0
	s_waitcnt lgkmcnt(0)
	s_and_b32 s0, s0, 0x3ff
	s_delay_alu instid0(SALU_CYCLE_1) | instskip(NEXT) | instid1(SALU_CYCLE_1)
	s_bitset1_b32 s0, 10
	s_mov_b32 m0, s0
	s_sendmsg sendmsg(MSG_INTERRUPT)
	s_mov_b32 m0, ttmp2
.LBB4_763:                              ; =>This Inner Loop Header: Depth=1
	s_sethalt 5
	s_branch .LBB4_763
.LBB4_764:
	s_trap 2
	s_sendmsg_rtn_b32 s0, sendmsg(MSG_RTN_GET_DOORBELL)
	s_mov_b32 ttmp2, m0
	s_waitcnt lgkmcnt(0)
	s_and_b32 s0, s0, 0x3ff
	s_delay_alu instid0(SALU_CYCLE_1) | instskip(NEXT) | instid1(SALU_CYCLE_1)
	s_bitset1_b32 s0, 10
	s_mov_b32 m0, s0
	s_sendmsg sendmsg(MSG_INTERRUPT)
	s_mov_b32 m0, ttmp2
.LBB4_765:                              ; =>This Inner Loop Header: Depth=1
	s_sethalt 5
	s_branch .LBB4_765
.LBB4_766:
	s_trap 2
	s_sendmsg_rtn_b32 s0, sendmsg(MSG_RTN_GET_DOORBELL)
	s_mov_b32 ttmp2, m0
	s_waitcnt lgkmcnt(0)
	s_and_b32 s0, s0, 0x3ff
	s_delay_alu instid0(SALU_CYCLE_1) | instskip(NEXT) | instid1(SALU_CYCLE_1)
	s_bitset1_b32 s0, 10
	s_mov_b32 m0, s0
	s_sendmsg sendmsg(MSG_INTERRUPT)
	s_mov_b32 m0, ttmp2
.LBB4_767:                              ; =>This Inner Loop Header: Depth=1
	s_sethalt 5
	s_branch .LBB4_767
.LBB4_768:
	s_trap 2
	s_sendmsg_rtn_b32 s0, sendmsg(MSG_RTN_GET_DOORBELL)
	s_mov_b32 ttmp2, m0
	s_waitcnt lgkmcnt(0)
	s_and_b32 s0, s0, 0x3ff
	s_delay_alu instid0(SALU_CYCLE_1) | instskip(NEXT) | instid1(SALU_CYCLE_1)
	s_bitset1_b32 s0, 10
	s_mov_b32 m0, s0
	s_sendmsg sendmsg(MSG_INTERRUPT)
	s_mov_b32 m0, ttmp2
.LBB4_769:                              ; =>This Inner Loop Header: Depth=1
	s_sethalt 5
	s_branch .LBB4_769
.LBB4_770:                              ;   in Loop: Header=BB4_771 Depth=1
	s_or_b32 exec_lo, exec_lo, s12
	s_delay_alu instid0(SALU_CYCLE_1) | instskip(NEXT) | instid1(SALU_CYCLE_1)
	s_and_b32 s10, exec_lo, s11
	s_or_b32 s4, s10, s4
	s_and_not1_b32 s5, s5, exec_lo
	s_and_b32 s10, s6, exec_lo
	s_delay_alu instid0(SALU_CYCLE_1)
	s_or_b32 s5, s5, s10
	s_and_not1_b32 exec_lo, exec_lo, s4
	s_cbranch_execz .LBB4_847
.LBB4_771:                              ; =>This Inner Loop Header: Depth=1
	s_add_i32 s7, s7, 1
                                        ; implicit-def: $sgpr11
	s_delay_alu instid0(SALU_CYCLE_1) | instskip(SKIP_1) | instid1(SALU_CYCLE_1)
	s_cmpk_lg_i32 s7, 0x2710
	s_cselect_b32 s10, -1, 0
	s_and_b32 vcc_lo, exec_lo, s10
	s_cbranch_vccz .LBB4_775
.LBB4_772:                              ;   in Loop: Header=BB4_771 Depth=1
	s_and_not1_b32 s6, s6, exec_lo
	s_and_b32 s12, s11, exec_lo
	s_mov_b32 s11, -1
	s_or_b32 s6, s6, s12
	s_and_saveexec_b32 s12, s10
	s_cbranch_execz .LBB4_770
; %bb.773:                              ;   in Loop: Header=BB4_771 Depth=1
	s_sleep 1
	s_cbranch_execnz .LBB4_785
; %bb.774:                              ;   in Loop: Header=BB4_771 Depth=1
	ds_load_b64 v[2:3], v0
	s_and_not1_b32 s6, s6, exec_lo
	s_waitcnt lgkmcnt(0)
	v_cmp_ge_u64_e32 vcc_lo, v[2:3], v[0:1]
	s_or_not1_b32 s11, vcc_lo, exec_lo
	s_branch .LBB4_770
.LBB4_775:                              ;   in Loop: Header=BB4_771 Depth=1
	s_cbranch_execnz .LBB4_787
; %bb.776:                              ;   in Loop: Header=BB4_771 Depth=1
	ds_load_b64 v[2:3], v0
	s_and_not1_b32 s10, s10, exec_lo
	s_mov_b32 s7, 0
	s_mov_b32 s11, -1
	s_waitcnt lgkmcnt(0)
	flat_load_b32 v2, v[2:3] glc
	s_waitcnt vmcnt(0) lgkmcnt(0)
	buffer_gl1_inv
	buffer_gl0_inv
	v_cmp_eq_u32_e32 vcc_lo, 0, v2
	s_and_b32 s12, vcc_lo, exec_lo
	s_delay_alu instid0(SALU_CYCLE_1)
	s_or_b32 s10, s10, s12
	s_branch .LBB4_772
.LBB4_777:
	s_trap 2
	s_sendmsg_rtn_b32 s0, sendmsg(MSG_RTN_GET_DOORBELL)
	s_mov_b32 ttmp2, m0
	s_waitcnt lgkmcnt(0)
	s_and_b32 s0, s0, 0x3ff
	s_delay_alu instid0(SALU_CYCLE_1) | instskip(NEXT) | instid1(SALU_CYCLE_1)
	s_bitset1_b32 s0, 10
	s_mov_b32 m0, s0
	s_sendmsg sendmsg(MSG_INTERRUPT)
	s_mov_b32 m0, ttmp2
.LBB4_778:                              ; =>This Inner Loop Header: Depth=1
	s_sethalt 5
	s_branch .LBB4_778
.LBB4_779:
	s_trap 2
	s_sendmsg_rtn_b32 s0, sendmsg(MSG_RTN_GET_DOORBELL)
	s_mov_b32 ttmp2, m0
	s_waitcnt lgkmcnt(0)
	s_and_b32 s0, s0, 0x3ff
	s_delay_alu instid0(SALU_CYCLE_1) | instskip(NEXT) | instid1(SALU_CYCLE_1)
	s_bitset1_b32 s0, 10
	s_mov_b32 m0, s0
	s_sendmsg sendmsg(MSG_INTERRUPT)
	s_mov_b32 m0, ttmp2
.LBB4_780:                              ; =>This Inner Loop Header: Depth=1
	s_sethalt 5
	s_branch .LBB4_780
.LBB4_781:
	s_trap 2
	s_sendmsg_rtn_b32 s0, sendmsg(MSG_RTN_GET_DOORBELL)
	s_mov_b32 ttmp2, m0
	s_waitcnt lgkmcnt(0)
	s_and_b32 s0, s0, 0x3ff
	s_delay_alu instid0(SALU_CYCLE_1) | instskip(NEXT) | instid1(SALU_CYCLE_1)
	s_bitset1_b32 s0, 10
	s_mov_b32 m0, s0
	s_sendmsg sendmsg(MSG_INTERRUPT)
	s_mov_b32 m0, ttmp2
.LBB4_782:                              ; =>This Inner Loop Header: Depth=1
	s_sethalt 5
	s_branch .LBB4_782
.LBB4_783:
	s_trap 2
	s_sendmsg_rtn_b32 s0, sendmsg(MSG_RTN_GET_DOORBELL)
	s_mov_b32 ttmp2, m0
	s_waitcnt lgkmcnt(0)
	s_and_b32 s0, s0, 0x3ff
	s_delay_alu instid0(SALU_CYCLE_1) | instskip(NEXT) | instid1(SALU_CYCLE_1)
	s_bitset1_b32 s0, 10
	s_mov_b32 m0, s0
	s_sendmsg sendmsg(MSG_INTERRUPT)
	s_mov_b32 m0, ttmp2
.LBB4_784:                              ; =>This Inner Loop Header: Depth=1
	s_sethalt 5
	s_branch .LBB4_784
.LBB4_785:
	s_trap 2
	s_sendmsg_rtn_b32 s0, sendmsg(MSG_RTN_GET_DOORBELL)
	s_mov_b32 ttmp2, m0
	s_waitcnt lgkmcnt(0)
	s_and_b32 s0, s0, 0x3ff
	s_delay_alu instid0(SALU_CYCLE_1) | instskip(NEXT) | instid1(SALU_CYCLE_1)
	s_bitset1_b32 s0, 10
	s_mov_b32 m0, s0
	s_sendmsg sendmsg(MSG_INTERRUPT)
	s_mov_b32 m0, ttmp2
.LBB4_786:                              ; =>This Inner Loop Header: Depth=1
	s_sethalt 5
	s_branch .LBB4_786
.LBB4_787:
	s_trap 2
	s_sendmsg_rtn_b32 s0, sendmsg(MSG_RTN_GET_DOORBELL)
	s_mov_b32 ttmp2, m0
	s_waitcnt lgkmcnt(0)
	s_and_b32 s0, s0, 0x3ff
	s_delay_alu instid0(SALU_CYCLE_1) | instskip(NEXT) | instid1(SALU_CYCLE_1)
	s_bitset1_b32 s0, 10
	s_mov_b32 m0, s0
	s_sendmsg sendmsg(MSG_INTERRUPT)
	s_mov_b32 m0, ttmp2
.LBB4_788:                              ; =>This Inner Loop Header: Depth=1
	s_sethalt 5
	s_branch .LBB4_788
.LBB4_789:
	s_trap 2
	s_sendmsg_rtn_b32 s0, sendmsg(MSG_RTN_GET_DOORBELL)
	s_mov_b32 ttmp2, m0
	s_waitcnt lgkmcnt(0)
	s_and_b32 s0, s0, 0x3ff
	s_delay_alu instid0(SALU_CYCLE_1) | instskip(NEXT) | instid1(SALU_CYCLE_1)
	s_bitset1_b32 s0, 10
	s_mov_b32 m0, s0
	s_sendmsg sendmsg(MSG_INTERRUPT)
	s_mov_b32 m0, ttmp2
.LBB4_790:                              ; =>This Inner Loop Header: Depth=1
	s_sethalt 5
	s_branch .LBB4_790
.LBB4_791:
	s_trap 2
	s_sendmsg_rtn_b32 s0, sendmsg(MSG_RTN_GET_DOORBELL)
	s_mov_b32 ttmp2, m0
	s_waitcnt lgkmcnt(0)
	s_and_b32 s0, s0, 0x3ff
	s_delay_alu instid0(SALU_CYCLE_1) | instskip(NEXT) | instid1(SALU_CYCLE_1)
	s_bitset1_b32 s0, 10
	s_mov_b32 m0, s0
	s_sendmsg sendmsg(MSG_INTERRUPT)
	s_mov_b32 m0, ttmp2
.LBB4_792:                              ; =>This Inner Loop Header: Depth=1
	s_sethalt 5
	s_branch .LBB4_792
.LBB4_793:
	s_trap 2
	s_sendmsg_rtn_b32 s0, sendmsg(MSG_RTN_GET_DOORBELL)
	s_mov_b32 ttmp2, m0
	s_waitcnt lgkmcnt(0)
	s_and_b32 s0, s0, 0x3ff
	s_delay_alu instid0(SALU_CYCLE_1) | instskip(NEXT) | instid1(SALU_CYCLE_1)
	s_bitset1_b32 s0, 10
	s_mov_b32 m0, s0
	s_sendmsg sendmsg(MSG_INTERRUPT)
	s_mov_b32 m0, ttmp2
.LBB4_794:                              ; =>This Inner Loop Header: Depth=1
	s_sethalt 5
	s_branch .LBB4_794
.LBB4_795:
	s_trap 2
	s_sendmsg_rtn_b32 s0, sendmsg(MSG_RTN_GET_DOORBELL)
	s_mov_b32 ttmp2, m0
	s_waitcnt lgkmcnt(0)
	s_and_b32 s0, s0, 0x3ff
	s_delay_alu instid0(SALU_CYCLE_1) | instskip(NEXT) | instid1(SALU_CYCLE_1)
	s_bitset1_b32 s0, 10
	s_mov_b32 m0, s0
	s_sendmsg sendmsg(MSG_INTERRUPT)
	s_mov_b32 m0, ttmp2
.LBB4_796:                              ; =>This Inner Loop Header: Depth=1
	s_sethalt 5
	s_branch .LBB4_796
.LBB4_797:
	s_trap 2
	s_sendmsg_rtn_b32 s0, sendmsg(MSG_RTN_GET_DOORBELL)
	s_mov_b32 ttmp2, m0
	s_waitcnt lgkmcnt(0)
	s_and_b32 s0, s0, 0x3ff
	s_delay_alu instid0(SALU_CYCLE_1) | instskip(NEXT) | instid1(SALU_CYCLE_1)
	s_bitset1_b32 s0, 10
	s_mov_b32 m0, s0
	s_sendmsg sendmsg(MSG_INTERRUPT)
	s_mov_b32 m0, ttmp2
.LBB4_798:                              ; =>This Inner Loop Header: Depth=1
	s_sethalt 5
	s_branch .LBB4_798
.LBB4_799:
	s_trap 2
	s_sendmsg_rtn_b32 s0, sendmsg(MSG_RTN_GET_DOORBELL)
	s_mov_b32 ttmp2, m0
	s_waitcnt lgkmcnt(0)
	s_and_b32 s0, s0, 0x3ff
	s_delay_alu instid0(SALU_CYCLE_1) | instskip(NEXT) | instid1(SALU_CYCLE_1)
	s_bitset1_b32 s0, 10
	s_mov_b32 m0, s0
	s_sendmsg sendmsg(MSG_INTERRUPT)
	s_mov_b32 m0, ttmp2
.LBB4_800:                              ; =>This Inner Loop Header: Depth=1
	s_sethalt 5
	s_branch .LBB4_800
.LBB4_801:
	s_trap 2
	s_sendmsg_rtn_b32 s0, sendmsg(MSG_RTN_GET_DOORBELL)
	s_mov_b32 ttmp2, m0
	s_waitcnt lgkmcnt(0)
	s_and_b32 s0, s0, 0x3ff
	s_delay_alu instid0(SALU_CYCLE_1) | instskip(NEXT) | instid1(SALU_CYCLE_1)
	s_bitset1_b32 s0, 10
	s_mov_b32 m0, s0
	s_sendmsg sendmsg(MSG_INTERRUPT)
	s_mov_b32 m0, ttmp2
.LBB4_802:                              ; =>This Inner Loop Header: Depth=1
	s_sethalt 5
	s_branch .LBB4_802
.LBB4_803:
	s_trap 2
	s_sendmsg_rtn_b32 s0, sendmsg(MSG_RTN_GET_DOORBELL)
	s_mov_b32 ttmp2, m0
	s_waitcnt lgkmcnt(0)
	s_and_b32 s0, s0, 0x3ff
	s_delay_alu instid0(SALU_CYCLE_1) | instskip(NEXT) | instid1(SALU_CYCLE_1)
	s_bitset1_b32 s0, 10
	s_mov_b32 m0, s0
	s_sendmsg sendmsg(MSG_INTERRUPT)
	s_mov_b32 m0, ttmp2
.LBB4_804:                              ; =>This Inner Loop Header: Depth=1
	s_sethalt 5
	s_branch .LBB4_804
.LBB4_805:
	s_trap 2
	s_sendmsg_rtn_b32 s0, sendmsg(MSG_RTN_GET_DOORBELL)
	s_mov_b32 ttmp2, m0
	s_waitcnt lgkmcnt(0)
	s_and_b32 s0, s0, 0x3ff
	s_delay_alu instid0(SALU_CYCLE_1) | instskip(NEXT) | instid1(SALU_CYCLE_1)
	s_bitset1_b32 s0, 10
	s_mov_b32 m0, s0
	s_sendmsg sendmsg(MSG_INTERRUPT)
	s_mov_b32 m0, ttmp2
.LBB4_806:                              ; =>This Inner Loop Header: Depth=1
	s_sethalt 5
	s_branch .LBB4_806
.LBB4_807:
	s_trap 2
	s_sendmsg_rtn_b32 s0, sendmsg(MSG_RTN_GET_DOORBELL)
	s_mov_b32 ttmp2, m0
	s_waitcnt lgkmcnt(0)
	s_and_b32 s0, s0, 0x3ff
	s_delay_alu instid0(SALU_CYCLE_1) | instskip(NEXT) | instid1(SALU_CYCLE_1)
	s_bitset1_b32 s0, 10
	s_mov_b32 m0, s0
	s_sendmsg sendmsg(MSG_INTERRUPT)
	s_mov_b32 m0, ttmp2
.LBB4_808:                              ; =>This Inner Loop Header: Depth=1
	s_sethalt 5
	s_branch .LBB4_808
.LBB4_809:
	s_trap 2
	s_sendmsg_rtn_b32 s0, sendmsg(MSG_RTN_GET_DOORBELL)
	s_mov_b32 ttmp2, m0
	s_waitcnt lgkmcnt(0)
	s_and_b32 s0, s0, 0x3ff
	s_delay_alu instid0(SALU_CYCLE_1) | instskip(NEXT) | instid1(SALU_CYCLE_1)
	s_bitset1_b32 s0, 10
	s_mov_b32 m0, s0
	s_sendmsg sendmsg(MSG_INTERRUPT)
	s_mov_b32 m0, ttmp2
.LBB4_810:                              ; =>This Inner Loop Header: Depth=1
	s_sethalt 5
	s_branch .LBB4_810
.LBB4_811:
	s_trap 2
	s_sendmsg_rtn_b32 s0, sendmsg(MSG_RTN_GET_DOORBELL)
	s_mov_b32 ttmp2, m0
	s_waitcnt lgkmcnt(0)
	s_and_b32 s0, s0, 0x3ff
	s_delay_alu instid0(SALU_CYCLE_1) | instskip(NEXT) | instid1(SALU_CYCLE_1)
	s_bitset1_b32 s0, 10
	s_mov_b32 m0, s0
	s_sendmsg sendmsg(MSG_INTERRUPT)
	s_mov_b32 m0, ttmp2
.LBB4_812:                              ; =>This Inner Loop Header: Depth=1
	s_sethalt 5
	s_branch .LBB4_812
.LBB4_813:
	s_trap 2
	s_sendmsg_rtn_b32 s0, sendmsg(MSG_RTN_GET_DOORBELL)
	s_mov_b32 ttmp2, m0
	s_waitcnt lgkmcnt(0)
	s_and_b32 s0, s0, 0x3ff
	s_delay_alu instid0(SALU_CYCLE_1) | instskip(NEXT) | instid1(SALU_CYCLE_1)
	s_bitset1_b32 s0, 10
	s_mov_b32 m0, s0
	s_sendmsg sendmsg(MSG_INTERRUPT)
	s_mov_b32 m0, ttmp2
.LBB4_814:                              ; =>This Inner Loop Header: Depth=1
	s_sethalt 5
	s_branch .LBB4_814
.LBB4_815:
	s_trap 2
	s_sendmsg_rtn_b32 s0, sendmsg(MSG_RTN_GET_DOORBELL)
	s_mov_b32 ttmp2, m0
	s_waitcnt lgkmcnt(0)
	s_and_b32 s0, s0, 0x3ff
	s_delay_alu instid0(SALU_CYCLE_1) | instskip(NEXT) | instid1(SALU_CYCLE_1)
	s_bitset1_b32 s0, 10
	s_mov_b32 m0, s0
	s_sendmsg sendmsg(MSG_INTERRUPT)
	s_mov_b32 m0, ttmp2
.LBB4_816:                              ; =>This Inner Loop Header: Depth=1
	s_sethalt 5
	s_branch .LBB4_816
.LBB4_817:
	s_trap 2
	s_sendmsg_rtn_b32 s0, sendmsg(MSG_RTN_GET_DOORBELL)
	s_mov_b32 ttmp2, m0
	s_waitcnt lgkmcnt(0)
	s_and_b32 s0, s0, 0x3ff
	s_delay_alu instid0(SALU_CYCLE_1) | instskip(NEXT) | instid1(SALU_CYCLE_1)
	s_bitset1_b32 s0, 10
	s_mov_b32 m0, s0
	s_sendmsg sendmsg(MSG_INTERRUPT)
	s_mov_b32 m0, ttmp2
.LBB4_818:                              ; =>This Inner Loop Header: Depth=1
	s_sethalt 5
	s_branch .LBB4_818
.LBB4_819:
	s_trap 2
	s_sendmsg_rtn_b32 s0, sendmsg(MSG_RTN_GET_DOORBELL)
	s_mov_b32 ttmp2, m0
	s_waitcnt lgkmcnt(0)
	s_and_b32 s0, s0, 0x3ff
	s_delay_alu instid0(SALU_CYCLE_1) | instskip(NEXT) | instid1(SALU_CYCLE_1)
	s_bitset1_b32 s0, 10
	s_mov_b32 m0, s0
	s_sendmsg sendmsg(MSG_INTERRUPT)
	s_mov_b32 m0, ttmp2
.LBB4_820:                              ; =>This Inner Loop Header: Depth=1
	s_sethalt 5
	s_branch .LBB4_820
.LBB4_821:
	s_trap 2
	s_sendmsg_rtn_b32 s0, sendmsg(MSG_RTN_GET_DOORBELL)
	s_mov_b32 ttmp2, m0
	s_waitcnt lgkmcnt(0)
	s_and_b32 s0, s0, 0x3ff
	s_delay_alu instid0(SALU_CYCLE_1) | instskip(NEXT) | instid1(SALU_CYCLE_1)
	s_bitset1_b32 s0, 10
	s_mov_b32 m0, s0
	s_sendmsg sendmsg(MSG_INTERRUPT)
	s_mov_b32 m0, ttmp2
.LBB4_822:                              ; =>This Inner Loop Header: Depth=1
	s_sethalt 5
	s_branch .LBB4_822
.LBB4_823:
	s_trap 2
	s_sendmsg_rtn_b32 s0, sendmsg(MSG_RTN_GET_DOORBELL)
	s_mov_b32 ttmp2, m0
	s_waitcnt lgkmcnt(0)
	s_and_b32 s0, s0, 0x3ff
	s_delay_alu instid0(SALU_CYCLE_1) | instskip(NEXT) | instid1(SALU_CYCLE_1)
	s_bitset1_b32 s0, 10
	s_mov_b32 m0, s0
	s_sendmsg sendmsg(MSG_INTERRUPT)
	s_mov_b32 m0, ttmp2
.LBB4_824:                              ; =>This Inner Loop Header: Depth=1
	s_sethalt 5
	s_branch .LBB4_824
.LBB4_825:
	s_trap 2
	s_sendmsg_rtn_b32 s0, sendmsg(MSG_RTN_GET_DOORBELL)
	s_mov_b32 ttmp2, m0
	s_waitcnt lgkmcnt(0)
	s_and_b32 s0, s0, 0x3ff
	s_delay_alu instid0(SALU_CYCLE_1) | instskip(NEXT) | instid1(SALU_CYCLE_1)
	s_bitset1_b32 s0, 10
	s_mov_b32 m0, s0
	s_sendmsg sendmsg(MSG_INTERRUPT)
	s_mov_b32 m0, ttmp2
.LBB4_826:                              ; =>This Inner Loop Header: Depth=1
	s_sethalt 5
	s_branch .LBB4_826
.LBB4_827:
	s_trap 2
	s_sendmsg_rtn_b32 s0, sendmsg(MSG_RTN_GET_DOORBELL)
	s_mov_b32 ttmp2, m0
	s_waitcnt lgkmcnt(0)
	s_and_b32 s0, s0, 0x3ff
	s_delay_alu instid0(SALU_CYCLE_1) | instskip(NEXT) | instid1(SALU_CYCLE_1)
	s_bitset1_b32 s0, 10
	s_mov_b32 m0, s0
	s_sendmsg sendmsg(MSG_INTERRUPT)
	s_mov_b32 m0, ttmp2
.LBB4_828:                              ; =>This Inner Loop Header: Depth=1
	s_sethalt 5
	s_branch .LBB4_828
.LBB4_829:
	s_trap 2
	s_sendmsg_rtn_b32 s0, sendmsg(MSG_RTN_GET_DOORBELL)
	s_mov_b32 ttmp2, m0
	s_waitcnt lgkmcnt(0)
	s_and_b32 s0, s0, 0x3ff
	s_delay_alu instid0(SALU_CYCLE_1) | instskip(NEXT) | instid1(SALU_CYCLE_1)
	s_bitset1_b32 s0, 10
	s_mov_b32 m0, s0
	s_sendmsg sendmsg(MSG_INTERRUPT)
	s_mov_b32 m0, ttmp2
.LBB4_830:                              ; =>This Inner Loop Header: Depth=1
	s_sethalt 5
	s_branch .LBB4_830
.LBB4_831:
	s_trap 2
	s_sendmsg_rtn_b32 s0, sendmsg(MSG_RTN_GET_DOORBELL)
	s_mov_b32 ttmp2, m0
	s_waitcnt lgkmcnt(0)
	s_and_b32 s0, s0, 0x3ff
	s_delay_alu instid0(SALU_CYCLE_1) | instskip(NEXT) | instid1(SALU_CYCLE_1)
	s_bitset1_b32 s0, 10
	s_mov_b32 m0, s0
	s_sendmsg sendmsg(MSG_INTERRUPT)
	s_mov_b32 m0, ttmp2
.LBB4_832:                              ; =>This Inner Loop Header: Depth=1
	s_sethalt 5
	s_branch .LBB4_832
.LBB4_833:
	s_trap 2
	s_sendmsg_rtn_b32 s0, sendmsg(MSG_RTN_GET_DOORBELL)
	s_mov_b32 ttmp2, m0
	s_waitcnt lgkmcnt(0)
	s_and_b32 s0, s0, 0x3ff
	s_delay_alu instid0(SALU_CYCLE_1) | instskip(NEXT) | instid1(SALU_CYCLE_1)
	s_bitset1_b32 s0, 10
	s_mov_b32 m0, s0
	s_sendmsg sendmsg(MSG_INTERRUPT)
	s_mov_b32 m0, ttmp2
.LBB4_834:                              ; =>This Inner Loop Header: Depth=1
	s_sethalt 5
	s_branch .LBB4_834
.LBB4_835:
	s_trap 2
	s_sendmsg_rtn_b32 s0, sendmsg(MSG_RTN_GET_DOORBELL)
	s_mov_b32 ttmp2, m0
	s_waitcnt lgkmcnt(0)
	s_and_b32 s0, s0, 0x3ff
	s_delay_alu instid0(SALU_CYCLE_1) | instskip(NEXT) | instid1(SALU_CYCLE_1)
	s_bitset1_b32 s0, 10
	s_mov_b32 m0, s0
	s_sendmsg sendmsg(MSG_INTERRUPT)
	s_mov_b32 m0, ttmp2
.LBB4_836:                              ; =>This Inner Loop Header: Depth=1
	s_sethalt 5
	s_branch .LBB4_836
.LBB4_837:
	s_trap 2
	s_sendmsg_rtn_b32 s0, sendmsg(MSG_RTN_GET_DOORBELL)
	s_mov_b32 ttmp2, m0
	s_waitcnt lgkmcnt(0)
	s_and_b32 s0, s0, 0x3ff
	s_delay_alu instid0(SALU_CYCLE_1) | instskip(NEXT) | instid1(SALU_CYCLE_1)
	s_bitset1_b32 s0, 10
	s_mov_b32 m0, s0
	s_sendmsg sendmsg(MSG_INTERRUPT)
	s_mov_b32 m0, ttmp2
.LBB4_838:                              ; =>This Inner Loop Header: Depth=1
	s_sethalt 5
	s_branch .LBB4_838
.LBB4_839:
	s_trap 2
	s_sendmsg_rtn_b32 s0, sendmsg(MSG_RTN_GET_DOORBELL)
	s_mov_b32 ttmp2, m0
	s_waitcnt lgkmcnt(0)
	s_and_b32 s0, s0, 0x3ff
	s_delay_alu instid0(SALU_CYCLE_1) | instskip(NEXT) | instid1(SALU_CYCLE_1)
	s_bitset1_b32 s0, 10
	s_mov_b32 m0, s0
	s_sendmsg sendmsg(MSG_INTERRUPT)
	s_mov_b32 m0, ttmp2
.LBB4_840:                              ; =>This Inner Loop Header: Depth=1
	s_sethalt 5
	s_branch .LBB4_840
.LBB4_841:
	s_trap 2
	s_sendmsg_rtn_b32 s0, sendmsg(MSG_RTN_GET_DOORBELL)
	s_mov_b32 ttmp2, m0
	s_waitcnt lgkmcnt(0)
	s_and_b32 s0, s0, 0x3ff
	s_delay_alu instid0(SALU_CYCLE_1) | instskip(NEXT) | instid1(SALU_CYCLE_1)
	s_bitset1_b32 s0, 10
	s_mov_b32 m0, s0
	s_sendmsg sendmsg(MSG_INTERRUPT)
	s_mov_b32 m0, ttmp2
.LBB4_842:                              ; =>This Inner Loop Header: Depth=1
	s_sethalt 5
	s_branch .LBB4_842
.LBB4_843:
	s_trap 2
	s_sendmsg_rtn_b32 s0, sendmsg(MSG_RTN_GET_DOORBELL)
	s_mov_b32 ttmp2, m0
	s_waitcnt lgkmcnt(0)
	s_and_b32 s0, s0, 0x3ff
	s_delay_alu instid0(SALU_CYCLE_1) | instskip(NEXT) | instid1(SALU_CYCLE_1)
	s_bitset1_b32 s0, 10
	s_mov_b32 m0, s0
	s_sendmsg sendmsg(MSG_INTERRUPT)
	s_mov_b32 m0, ttmp2
.LBB4_844:                              ; =>This Inner Loop Header: Depth=1
	s_sethalt 5
	s_branch .LBB4_844
.LBB4_845:
	s_trap 2
	s_sendmsg_rtn_b32 s0, sendmsg(MSG_RTN_GET_DOORBELL)
	s_mov_b32 ttmp2, m0
	s_waitcnt lgkmcnt(0)
	s_and_b32 s0, s0, 0x3ff
	s_delay_alu instid0(SALU_CYCLE_1) | instskip(NEXT) | instid1(SALU_CYCLE_1)
	s_bitset1_b32 s0, 10
	s_mov_b32 m0, s0
	s_sendmsg sendmsg(MSG_INTERRUPT)
	s_mov_b32 m0, ttmp2
.LBB4_846:                              ; =>This Inner Loop Header: Depth=1
	s_sethalt 5
	s_branch .LBB4_846
.LBB4_847:
	s_or_b32 exec_lo, exec_lo, s4
	s_and_saveexec_b32 s4, s5
	s_delay_alu instid0(SALU_CYCLE_1)
	s_xor_b32 s4, exec_lo, s4
	s_cbranch_execz .LBB4_849
; %bb.848:
	v_mov_b32_e32 v0, 1
	ds_store_b32 v0, v0
	s_cbranch_execnz .LBB4_897
.LBB4_849:
	s_or_b32 exec_lo, exec_lo, s3
	;;#ASMSTART
	s_wakeup
	;;#ASMEND
.LBB4_850:
	s_or_b32 exec_lo, exec_lo, s2
.LBB4_851:
	s_and_not1_saveexec_b32 s1, s1
	s_cbranch_execz .LBB4_853
; %bb.852:
	s_waitcnt lgkmcnt(0)
	s_waitcnt_vscnt null, 0x0
	buffer_gl1_inv
	buffer_gl0_inv
	s_barrier
.LBB4_853:
	s_or_b32 exec_lo, exec_lo, s0
.LBB4_854:
	s_and_not1_saveexec_b32 s21, s16
	s_cbranch_execz .LBB4_856
; %bb.855:
	s_getpc_b64 s[0:1]
	s_add_u32 s0, s0, __PRETTY_FUNCTION__._ZN10PrimitivesIa7FuncSumIaE12FanSymmetricILi1EELi0E11ProtoSimpleILi2ELi2ELi0ELi2ELi0ELi0EELi0ELb0ELi0ELi0ELi0EEC2EiiPKiS8_PKvPvmhhhP15ncclDevWorkCollP14ncclDevWorkP2pii@rel32@lo+4
	s_addc_u32 s1, s1, __PRETTY_FUNCTION__._ZN10PrimitivesIa7FuncSumIaE12FanSymmetricILi1EELi0E11ProtoSimpleILi2ELi2ELi0ELi2ELi0ELi0EELi0ELb0ELi0ELi0ELi0EEC2EiiPKiS8_PKvPvmhhhP15ncclDevWorkCollP14ncclDevWorkP2pii@rel32@hi+12
	s_delay_alu instid0(SALU_CYCLE_1) | instskip(SKIP_3) | instid1(SALU_CYCLE_1)
	v_dual_mov_b32 v0, s0 :: v_dual_mov_b32 v1, s1
	s_getpc_b64 s[2:3]
	s_add_u32 s2, s2, __assert_fail@rel32@lo+4
	s_addc_u32 s3, s3, __assert_fail@rel32@hi+12
	s_swappc_b64 s[30:31], s[2:3]
	; divergent unreachable
.LBB4_856:
	s_or_b32 exec_lo, exec_lo, s21
	scratch_load_b32 v40, off, s33          ; 4-byte Folded Reload
	v_readlane_b32 s30, v41, 8
	v_readlane_b32 s31, v41, 9
	;; [unrolled: 1-line block ×11, first 2 shown]
	s_or_saveexec_b32 s1, -1
	scratch_load_b32 v41, off, s33 offset:4 ; 4-byte Folded Reload
	s_mov_b32 exec_lo, s1
	s_add_i32 s32, s32, -16
	s_mov_b32 s33, s0
	s_waitcnt vmcnt(0) lgkmcnt(0)
	s_setpc_b64 s[30:31]
.LBB4_857:
	s_trap 2
	s_sendmsg_rtn_b32 s0, sendmsg(MSG_RTN_GET_DOORBELL)
	s_mov_b32 ttmp2, m0
	s_waitcnt lgkmcnt(0)
	s_and_b32 s0, s0, 0x3ff
	s_delay_alu instid0(SALU_CYCLE_1) | instskip(NEXT) | instid1(SALU_CYCLE_1)
	s_bitset1_b32 s0, 10
	s_mov_b32 m0, s0
	s_sendmsg sendmsg(MSG_INTERRUPT)
	s_mov_b32 m0, ttmp2
.LBB4_858:                              ; =>This Inner Loop Header: Depth=1
	s_sethalt 5
	s_branch .LBB4_858
.LBB4_859:
	s_trap 2
	s_sendmsg_rtn_b32 s0, sendmsg(MSG_RTN_GET_DOORBELL)
	s_mov_b32 ttmp2, m0
	s_waitcnt lgkmcnt(0)
	s_and_b32 s0, s0, 0x3ff
	s_delay_alu instid0(SALU_CYCLE_1) | instskip(NEXT) | instid1(SALU_CYCLE_1)
	s_bitset1_b32 s0, 10
	s_mov_b32 m0, s0
	s_sendmsg sendmsg(MSG_INTERRUPT)
	s_mov_b32 m0, ttmp2
.LBB4_860:                              ; =>This Inner Loop Header: Depth=1
	s_sethalt 5
	s_branch .LBB4_860
.LBB4_861:
	s_trap 2
	s_sendmsg_rtn_b32 s0, sendmsg(MSG_RTN_GET_DOORBELL)
	s_mov_b32 ttmp2, m0
	s_waitcnt lgkmcnt(0)
	s_and_b32 s0, s0, 0x3ff
	s_delay_alu instid0(SALU_CYCLE_1) | instskip(NEXT) | instid1(SALU_CYCLE_1)
	s_bitset1_b32 s0, 10
	s_mov_b32 m0, s0
	s_sendmsg sendmsg(MSG_INTERRUPT)
	s_mov_b32 m0, ttmp2
.LBB4_862:                              ; =>This Inner Loop Header: Depth=1
	s_sethalt 5
	s_branch .LBB4_862
.LBB4_863:
	s_trap 2
	s_sendmsg_rtn_b32 s0, sendmsg(MSG_RTN_GET_DOORBELL)
	s_mov_b32 ttmp2, m0
	s_waitcnt lgkmcnt(0)
	s_and_b32 s0, s0, 0x3ff
	s_delay_alu instid0(SALU_CYCLE_1) | instskip(NEXT) | instid1(SALU_CYCLE_1)
	s_bitset1_b32 s0, 10
	s_mov_b32 m0, s0
	s_sendmsg sendmsg(MSG_INTERRUPT)
	s_mov_b32 m0, ttmp2
.LBB4_864:                              ; =>This Inner Loop Header: Depth=1
	s_sethalt 5
	s_branch .LBB4_864
.LBB4_865:
	s_trap 2
	s_sendmsg_rtn_b32 s0, sendmsg(MSG_RTN_GET_DOORBELL)
	s_mov_b32 ttmp2, m0
	s_waitcnt lgkmcnt(0)
	s_and_b32 s0, s0, 0x3ff
	s_delay_alu instid0(SALU_CYCLE_1) | instskip(NEXT) | instid1(SALU_CYCLE_1)
	s_bitset1_b32 s0, 10
	s_mov_b32 m0, s0
	s_sendmsg sendmsg(MSG_INTERRUPT)
	s_mov_b32 m0, ttmp2
.LBB4_866:                              ; =>This Inner Loop Header: Depth=1
	s_sethalt 5
	s_branch .LBB4_866
.LBB4_867:
	s_trap 2
	s_sendmsg_rtn_b32 s0, sendmsg(MSG_RTN_GET_DOORBELL)
	s_mov_b32 ttmp2, m0
	s_waitcnt lgkmcnt(0)
	s_and_b32 s0, s0, 0x3ff
	s_delay_alu instid0(SALU_CYCLE_1) | instskip(NEXT) | instid1(SALU_CYCLE_1)
	s_bitset1_b32 s0, 10
	s_mov_b32 m0, s0
	s_sendmsg sendmsg(MSG_INTERRUPT)
	s_mov_b32 m0, ttmp2
.LBB4_868:                              ; =>This Inner Loop Header: Depth=1
	s_sethalt 5
	s_branch .LBB4_868
.LBB4_869:
	s_trap 2
	s_sendmsg_rtn_b32 s0, sendmsg(MSG_RTN_GET_DOORBELL)
	s_mov_b32 ttmp2, m0
	s_waitcnt lgkmcnt(0)
	s_and_b32 s0, s0, 0x3ff
	s_delay_alu instid0(SALU_CYCLE_1) | instskip(NEXT) | instid1(SALU_CYCLE_1)
	s_bitset1_b32 s0, 10
	s_mov_b32 m0, s0
	s_sendmsg sendmsg(MSG_INTERRUPT)
	s_mov_b32 m0, ttmp2
.LBB4_870:                              ; =>This Inner Loop Header: Depth=1
	s_sethalt 5
	s_branch .LBB4_870
.LBB4_871:
	s_trap 2
	s_sendmsg_rtn_b32 s0, sendmsg(MSG_RTN_GET_DOORBELL)
	s_mov_b32 ttmp2, m0
	s_waitcnt lgkmcnt(0)
	s_and_b32 s0, s0, 0x3ff
	s_delay_alu instid0(SALU_CYCLE_1) | instskip(NEXT) | instid1(SALU_CYCLE_1)
	s_bitset1_b32 s0, 10
	s_mov_b32 m0, s0
	s_sendmsg sendmsg(MSG_INTERRUPT)
	s_mov_b32 m0, ttmp2
.LBB4_872:                              ; =>This Inner Loop Header: Depth=1
	s_sethalt 5
	s_branch .LBB4_872
.LBB4_873:
	s_trap 2
	s_sendmsg_rtn_b32 s0, sendmsg(MSG_RTN_GET_DOORBELL)
	s_mov_b32 ttmp2, m0
	s_waitcnt lgkmcnt(0)
	s_and_b32 s0, s0, 0x3ff
	s_delay_alu instid0(SALU_CYCLE_1) | instskip(NEXT) | instid1(SALU_CYCLE_1)
	s_bitset1_b32 s0, 10
	s_mov_b32 m0, s0
	s_sendmsg sendmsg(MSG_INTERRUPT)
	s_mov_b32 m0, ttmp2
.LBB4_874:                              ; =>This Inner Loop Header: Depth=1
	s_sethalt 5
	s_branch .LBB4_874
.LBB4_875:
	s_trap 2
	s_sendmsg_rtn_b32 s0, sendmsg(MSG_RTN_GET_DOORBELL)
	s_mov_b32 ttmp2, m0
	s_waitcnt lgkmcnt(0)
	s_and_b32 s0, s0, 0x3ff
	s_delay_alu instid0(SALU_CYCLE_1) | instskip(NEXT) | instid1(SALU_CYCLE_1)
	s_bitset1_b32 s0, 10
	s_mov_b32 m0, s0
	s_sendmsg sendmsg(MSG_INTERRUPT)
	s_mov_b32 m0, ttmp2
.LBB4_876:                              ; =>This Inner Loop Header: Depth=1
	s_sethalt 5
	s_branch .LBB4_876
.LBB4_877:
	s_trap 2
	s_sendmsg_rtn_b32 s0, sendmsg(MSG_RTN_GET_DOORBELL)
	s_mov_b32 ttmp2, m0
	s_waitcnt lgkmcnt(0)
	s_and_b32 s0, s0, 0x3ff
	s_delay_alu instid0(SALU_CYCLE_1) | instskip(NEXT) | instid1(SALU_CYCLE_1)
	s_bitset1_b32 s0, 10
	s_mov_b32 m0, s0
	s_sendmsg sendmsg(MSG_INTERRUPT)
	s_mov_b32 m0, ttmp2
.LBB4_878:                              ; =>This Inner Loop Header: Depth=1
	s_sethalt 5
	s_branch .LBB4_878
.LBB4_879:
	s_trap 2
	s_sendmsg_rtn_b32 s0, sendmsg(MSG_RTN_GET_DOORBELL)
	s_mov_b32 ttmp2, m0
	s_waitcnt lgkmcnt(0)
	s_and_b32 s0, s0, 0x3ff
	s_delay_alu instid0(SALU_CYCLE_1) | instskip(NEXT) | instid1(SALU_CYCLE_1)
	s_bitset1_b32 s0, 10
	s_mov_b32 m0, s0
	s_sendmsg sendmsg(MSG_INTERRUPT)
	s_mov_b32 m0, ttmp2
.LBB4_880:                              ; =>This Inner Loop Header: Depth=1
	s_sethalt 5
	s_branch .LBB4_880
.LBB4_881:
	s_trap 2
	s_sendmsg_rtn_b32 s0, sendmsg(MSG_RTN_GET_DOORBELL)
	s_mov_b32 ttmp2, m0
	s_waitcnt lgkmcnt(0)
	s_and_b32 s0, s0, 0x3ff
	s_delay_alu instid0(SALU_CYCLE_1) | instskip(NEXT) | instid1(SALU_CYCLE_1)
	s_bitset1_b32 s0, 10
	s_mov_b32 m0, s0
	s_sendmsg sendmsg(MSG_INTERRUPT)
	s_mov_b32 m0, ttmp2
.LBB4_882:                              ; =>This Inner Loop Header: Depth=1
	s_sethalt 5
	s_branch .LBB4_882
.LBB4_883:
	s_trap 2
	s_sendmsg_rtn_b32 s0, sendmsg(MSG_RTN_GET_DOORBELL)
	s_mov_b32 ttmp2, m0
	s_waitcnt lgkmcnt(0)
	s_and_b32 s0, s0, 0x3ff
	s_delay_alu instid0(SALU_CYCLE_1) | instskip(NEXT) | instid1(SALU_CYCLE_1)
	s_bitset1_b32 s0, 10
	s_mov_b32 m0, s0
	s_sendmsg sendmsg(MSG_INTERRUPT)
	s_mov_b32 m0, ttmp2
.LBB4_884:                              ; =>This Inner Loop Header: Depth=1
	s_sethalt 5
	s_branch .LBB4_884
.LBB4_885:
	s_trap 2
	s_sendmsg_rtn_b32 s0, sendmsg(MSG_RTN_GET_DOORBELL)
	s_mov_b32 ttmp2, m0
	s_waitcnt lgkmcnt(0)
	s_and_b32 s0, s0, 0x3ff
	s_delay_alu instid0(SALU_CYCLE_1) | instskip(NEXT) | instid1(SALU_CYCLE_1)
	s_bitset1_b32 s0, 10
	s_mov_b32 m0, s0
	s_sendmsg sendmsg(MSG_INTERRUPT)
	s_mov_b32 m0, ttmp2
.LBB4_886:                              ; =>This Inner Loop Header: Depth=1
	s_sethalt 5
	s_branch .LBB4_886
.LBB4_887:
	s_trap 2
	s_sendmsg_rtn_b32 s0, sendmsg(MSG_RTN_GET_DOORBELL)
	s_mov_b32 ttmp2, m0
	s_waitcnt lgkmcnt(0)
	s_and_b32 s0, s0, 0x3ff
	s_delay_alu instid0(SALU_CYCLE_1) | instskip(NEXT) | instid1(SALU_CYCLE_1)
	s_bitset1_b32 s0, 10
	s_mov_b32 m0, s0
	s_sendmsg sendmsg(MSG_INTERRUPT)
	s_mov_b32 m0, ttmp2
.LBB4_888:                              ; =>This Inner Loop Header: Depth=1
	s_sethalt 5
	s_branch .LBB4_888
.LBB4_889:
	s_trap 2
	s_sendmsg_rtn_b32 s0, sendmsg(MSG_RTN_GET_DOORBELL)
	s_mov_b32 ttmp2, m0
	s_waitcnt lgkmcnt(0)
	s_and_b32 s0, s0, 0x3ff
	s_delay_alu instid0(SALU_CYCLE_1) | instskip(NEXT) | instid1(SALU_CYCLE_1)
	s_bitset1_b32 s0, 10
	s_mov_b32 m0, s0
	s_sendmsg sendmsg(MSG_INTERRUPT)
	s_mov_b32 m0, ttmp2
.LBB4_890:                              ; =>This Inner Loop Header: Depth=1
	s_sethalt 5
	s_branch .LBB4_890
.LBB4_891:
	s_trap 2
	s_sendmsg_rtn_b32 s0, sendmsg(MSG_RTN_GET_DOORBELL)
	s_mov_b32 ttmp2, m0
	s_waitcnt lgkmcnt(0)
	s_and_b32 s0, s0, 0x3ff
	s_delay_alu instid0(SALU_CYCLE_1) | instskip(NEXT) | instid1(SALU_CYCLE_1)
	s_bitset1_b32 s0, 10
	s_mov_b32 m0, s0
	s_sendmsg sendmsg(MSG_INTERRUPT)
	s_mov_b32 m0, ttmp2
.LBB4_892:                              ; =>This Inner Loop Header: Depth=1
	s_sethalt 5
	s_branch .LBB4_892
.LBB4_893:
	s_trap 2
	s_sendmsg_rtn_b32 s0, sendmsg(MSG_RTN_GET_DOORBELL)
	s_mov_b32 ttmp2, m0
	s_waitcnt lgkmcnt(0)
	s_and_b32 s0, s0, 0x3ff
	s_delay_alu instid0(SALU_CYCLE_1) | instskip(NEXT) | instid1(SALU_CYCLE_1)
	s_bitset1_b32 s0, 10
	s_mov_b32 m0, s0
	s_sendmsg sendmsg(MSG_INTERRUPT)
	s_mov_b32 m0, ttmp2
.LBB4_894:                              ; =>This Inner Loop Header: Depth=1
	s_sethalt 5
	s_branch .LBB4_894
.LBB4_895:
	s_trap 2
	s_sendmsg_rtn_b32 s0, sendmsg(MSG_RTN_GET_DOORBELL)
	s_mov_b32 ttmp2, m0
	s_waitcnt lgkmcnt(0)
	s_and_b32 s0, s0, 0x3ff
	s_delay_alu instid0(SALU_CYCLE_1) | instskip(NEXT) | instid1(SALU_CYCLE_1)
	s_bitset1_b32 s0, 10
	s_mov_b32 m0, s0
	s_sendmsg sendmsg(MSG_INTERRUPT)
	s_mov_b32 m0, ttmp2
.LBB4_896:                              ; =>This Inner Loop Header: Depth=1
	s_sethalt 5
	s_branch .LBB4_896
.LBB4_897:
	s_trap 2
	s_sendmsg_rtn_b32 s0, sendmsg(MSG_RTN_GET_DOORBELL)
	s_mov_b32 ttmp2, m0
	s_waitcnt lgkmcnt(0)
	s_and_b32 s0, s0, 0x3ff
	s_delay_alu instid0(SALU_CYCLE_1) | instskip(NEXT) | instid1(SALU_CYCLE_1)
	s_bitset1_b32 s0, 10
	s_mov_b32 m0, s0
	s_sendmsg sendmsg(MSG_INTERRUPT)
	s_mov_b32 m0, ttmp2
.LBB4_898:                              ; =>This Inner Loop Header: Depth=1
	s_sethalt 5
	s_branch .LBB4_898
.LBB4_899:
	s_trap 2
	s_sendmsg_rtn_b32 s0, sendmsg(MSG_RTN_GET_DOORBELL)
	s_mov_b32 ttmp2, m0
	s_waitcnt lgkmcnt(0)
	s_and_b32 s0, s0, 0x3ff
	s_delay_alu instid0(SALU_CYCLE_1) | instskip(NEXT) | instid1(SALU_CYCLE_1)
	s_bitset1_b32 s0, 10
	s_mov_b32 m0, s0
	s_sendmsg sendmsg(MSG_INTERRUPT)
	s_mov_b32 m0, ttmp2
.LBB4_900:                              ; =>This Inner Loop Header: Depth=1
	s_sethalt 5
	s_branch .LBB4_900
.LBB4_901:
	s_trap 2
	s_sendmsg_rtn_b32 s0, sendmsg(MSG_RTN_GET_DOORBELL)
	s_mov_b32 ttmp2, m0
	s_waitcnt lgkmcnt(0)
	s_and_b32 s0, s0, 0x3ff
	s_delay_alu instid0(SALU_CYCLE_1) | instskip(NEXT) | instid1(SALU_CYCLE_1)
	s_bitset1_b32 s0, 10
	s_mov_b32 m0, s0
	s_sendmsg sendmsg(MSG_INTERRUPT)
	s_mov_b32 m0, ttmp2
.LBB4_902:                              ; =>This Inner Loop Header: Depth=1
	s_sethalt 5
	s_branch .LBB4_902
.LBB4_903:
	s_trap 2
	s_sendmsg_rtn_b32 s0, sendmsg(MSG_RTN_GET_DOORBELL)
	s_mov_b32 ttmp2, m0
	s_waitcnt lgkmcnt(0)
	s_and_b32 s0, s0, 0x3ff
	s_delay_alu instid0(SALU_CYCLE_1) | instskip(NEXT) | instid1(SALU_CYCLE_1)
	s_bitset1_b32 s0, 10
	s_mov_b32 m0, s0
	s_sendmsg sendmsg(MSG_INTERRUPT)
	s_mov_b32 m0, ttmp2
.LBB4_904:                              ; =>This Inner Loop Header: Depth=1
	s_sethalt 5
	s_branch .LBB4_904
.LBB4_905:
	s_trap 2
	s_sendmsg_rtn_b32 s0, sendmsg(MSG_RTN_GET_DOORBELL)
	s_mov_b32 ttmp2, m0
	s_waitcnt lgkmcnt(0)
	s_and_b32 s0, s0, 0x3ff
	s_delay_alu instid0(SALU_CYCLE_1) | instskip(NEXT) | instid1(SALU_CYCLE_1)
	s_bitset1_b32 s0, 10
	s_mov_b32 m0, s0
	s_sendmsg sendmsg(MSG_INTERRUPT)
	s_mov_b32 m0, ttmp2
.LBB4_906:                              ; =>This Inner Loop Header: Depth=1
	s_sethalt 5
	s_branch .LBB4_906
.LBB4_907:
	s_trap 2
	s_sendmsg_rtn_b32 s0, sendmsg(MSG_RTN_GET_DOORBELL)
	s_mov_b32 ttmp2, m0
	s_waitcnt lgkmcnt(0)
	s_and_b32 s0, s0, 0x3ff
	s_delay_alu instid0(SALU_CYCLE_1) | instskip(NEXT) | instid1(SALU_CYCLE_1)
	s_bitset1_b32 s0, 10
	s_mov_b32 m0, s0
	s_sendmsg sendmsg(MSG_INTERRUPT)
	s_mov_b32 m0, ttmp2
.LBB4_908:                              ; =>This Inner Loop Header: Depth=1
	s_sethalt 5
	s_branch .LBB4_908
.LBB4_909:
	s_trap 2
	s_sendmsg_rtn_b32 s0, sendmsg(MSG_RTN_GET_DOORBELL)
	s_mov_b32 ttmp2, m0
	s_waitcnt lgkmcnt(0)
	s_and_b32 s0, s0, 0x3ff
	s_delay_alu instid0(SALU_CYCLE_1) | instskip(NEXT) | instid1(SALU_CYCLE_1)
	s_bitset1_b32 s0, 10
	s_mov_b32 m0, s0
	s_sendmsg sendmsg(MSG_INTERRUPT)
	s_mov_b32 m0, ttmp2
.LBB4_910:                              ; =>This Inner Loop Header: Depth=1
	s_sethalt 5
	s_branch .LBB4_910
.LBB4_911:
	s_trap 2
	s_sendmsg_rtn_b32 s0, sendmsg(MSG_RTN_GET_DOORBELL)
	s_mov_b32 ttmp2, m0
	s_waitcnt lgkmcnt(0)
	s_and_b32 s0, s0, 0x3ff
	s_delay_alu instid0(SALU_CYCLE_1) | instskip(NEXT) | instid1(SALU_CYCLE_1)
	s_bitset1_b32 s0, 10
	s_mov_b32 m0, s0
	s_sendmsg sendmsg(MSG_INTERRUPT)
	s_mov_b32 m0, ttmp2
.LBB4_912:                              ; =>This Inner Loop Header: Depth=1
	s_sethalt 5
	s_branch .LBB4_912
.LBB4_913:
	s_trap 2
	s_sendmsg_rtn_b32 s0, sendmsg(MSG_RTN_GET_DOORBELL)
	s_mov_b32 ttmp2, m0
	s_waitcnt lgkmcnt(0)
	s_and_b32 s0, s0, 0x3ff
	s_delay_alu instid0(SALU_CYCLE_1) | instskip(NEXT) | instid1(SALU_CYCLE_1)
	s_bitset1_b32 s0, 10
	s_mov_b32 m0, s0
	s_sendmsg sendmsg(MSG_INTERRUPT)
	s_mov_b32 m0, ttmp2
.LBB4_914:                              ; =>This Inner Loop Header: Depth=1
	s_sethalt 5
	s_branch .LBB4_914
.LBB4_915:
	s_trap 2
	s_sendmsg_rtn_b32 s0, sendmsg(MSG_RTN_GET_DOORBELL)
	s_mov_b32 ttmp2, m0
	s_waitcnt lgkmcnt(0)
	s_and_b32 s0, s0, 0x3ff
	s_delay_alu instid0(SALU_CYCLE_1) | instskip(NEXT) | instid1(SALU_CYCLE_1)
	s_bitset1_b32 s0, 10
	s_mov_b32 m0, s0
	s_sendmsg sendmsg(MSG_INTERRUPT)
	s_mov_b32 m0, ttmp2
.LBB4_916:                              ; =>This Inner Loop Header: Depth=1
	s_sethalt 5
	s_branch .LBB4_916
.LBB4_917:
	s_trap 2
	s_sendmsg_rtn_b32 s0, sendmsg(MSG_RTN_GET_DOORBELL)
	s_mov_b32 ttmp2, m0
	s_waitcnt lgkmcnt(0)
	s_and_b32 s0, s0, 0x3ff
	s_delay_alu instid0(SALU_CYCLE_1) | instskip(NEXT) | instid1(SALU_CYCLE_1)
	s_bitset1_b32 s0, 10
	s_mov_b32 m0, s0
	s_sendmsg sendmsg(MSG_INTERRUPT)
	s_mov_b32 m0, ttmp2
.LBB4_918:                              ; =>This Inner Loop Header: Depth=1
	s_sethalt 5
	s_branch .LBB4_918
.LBB4_919:
	s_trap 2
	s_sendmsg_rtn_b32 s0, sendmsg(MSG_RTN_GET_DOORBELL)
	s_mov_b32 ttmp2, m0
	s_waitcnt lgkmcnt(0)
	s_and_b32 s0, s0, 0x3ff
	s_delay_alu instid0(SALU_CYCLE_1) | instskip(NEXT) | instid1(SALU_CYCLE_1)
	s_bitset1_b32 s0, 10
	s_mov_b32 m0, s0
	s_sendmsg sendmsg(MSG_INTERRUPT)
	s_mov_b32 m0, ttmp2
.LBB4_920:                              ; =>This Inner Loop Header: Depth=1
	s_sethalt 5
	s_branch .LBB4_920
.LBB4_921:
	s_trap 2
	s_sendmsg_rtn_b32 s0, sendmsg(MSG_RTN_GET_DOORBELL)
	s_mov_b32 ttmp2, m0
	s_waitcnt lgkmcnt(0)
	s_and_b32 s0, s0, 0x3ff
	s_delay_alu instid0(SALU_CYCLE_1) | instskip(NEXT) | instid1(SALU_CYCLE_1)
	s_bitset1_b32 s0, 10
	s_mov_b32 m0, s0
	s_sendmsg sendmsg(MSG_INTERRUPT)
	s_mov_b32 m0, ttmp2
.LBB4_922:                              ; =>This Inner Loop Header: Depth=1
	s_sethalt 5
	s_branch .LBB4_922
.LBB4_923:
	s_trap 2
	s_sendmsg_rtn_b32 s0, sendmsg(MSG_RTN_GET_DOORBELL)
	s_mov_b32 ttmp2, m0
	s_waitcnt lgkmcnt(0)
	s_and_b32 s0, s0, 0x3ff
	s_delay_alu instid0(SALU_CYCLE_1) | instskip(NEXT) | instid1(SALU_CYCLE_1)
	s_bitset1_b32 s0, 10
	s_mov_b32 m0, s0
	s_sendmsg sendmsg(MSG_INTERRUPT)
	s_mov_b32 m0, ttmp2
.LBB4_924:                              ; =>This Inner Loop Header: Depth=1
	s_sethalt 5
	s_branch .LBB4_924
.LBB4_925:
	s_trap 2
	s_sendmsg_rtn_b32 s0, sendmsg(MSG_RTN_GET_DOORBELL)
	s_mov_b32 ttmp2, m0
	s_waitcnt lgkmcnt(0)
	s_and_b32 s0, s0, 0x3ff
	s_delay_alu instid0(SALU_CYCLE_1) | instskip(NEXT) | instid1(SALU_CYCLE_1)
	s_bitset1_b32 s0, 10
	s_mov_b32 m0, s0
	s_sendmsg sendmsg(MSG_INTERRUPT)
	s_mov_b32 m0, ttmp2
.LBB4_926:                              ; =>This Inner Loop Header: Depth=1
	s_sethalt 5
	s_branch .LBB4_926
.LBB4_927:
	s_trap 2
	s_sendmsg_rtn_b32 s0, sendmsg(MSG_RTN_GET_DOORBELL)
	s_mov_b32 ttmp2, m0
	s_waitcnt lgkmcnt(0)
	s_and_b32 s0, s0, 0x3ff
	s_delay_alu instid0(SALU_CYCLE_1) | instskip(NEXT) | instid1(SALU_CYCLE_1)
	s_bitset1_b32 s0, 10
	s_mov_b32 m0, s0
	s_sendmsg sendmsg(MSG_INTERRUPT)
	s_mov_b32 m0, ttmp2
.LBB4_928:                              ; =>This Inner Loop Header: Depth=1
	s_sethalt 5
	s_branch .LBB4_928
.LBB4_929:
	s_trap 2
	s_sendmsg_rtn_b32 s0, sendmsg(MSG_RTN_GET_DOORBELL)
	s_mov_b32 ttmp2, m0
	s_waitcnt lgkmcnt(0)
	s_and_b32 s0, s0, 0x3ff
	s_delay_alu instid0(SALU_CYCLE_1) | instskip(NEXT) | instid1(SALU_CYCLE_1)
	s_bitset1_b32 s0, 10
	s_mov_b32 m0, s0
	s_sendmsg sendmsg(MSG_INTERRUPT)
	s_mov_b32 m0, ttmp2
.LBB4_930:                              ; =>This Inner Loop Header: Depth=1
	s_sethalt 5
	s_branch .LBB4_930
.LBB4_931:
	s_trap 2
	s_sendmsg_rtn_b32 s0, sendmsg(MSG_RTN_GET_DOORBELL)
	s_mov_b32 ttmp2, m0
	s_waitcnt lgkmcnt(0)
	s_and_b32 s0, s0, 0x3ff
	s_delay_alu instid0(SALU_CYCLE_1) | instskip(NEXT) | instid1(SALU_CYCLE_1)
	s_bitset1_b32 s0, 10
	s_mov_b32 m0, s0
	s_sendmsg sendmsg(MSG_INTERRUPT)
	s_mov_b32 m0, ttmp2
.LBB4_932:                              ; =>This Inner Loop Header: Depth=1
	s_sethalt 5
	s_branch .LBB4_932
.LBB4_933:
	s_trap 2
	s_sendmsg_rtn_b32 s0, sendmsg(MSG_RTN_GET_DOORBELL)
	s_mov_b32 ttmp2, m0
	s_waitcnt lgkmcnt(0)
	s_and_b32 s0, s0, 0x3ff
	s_delay_alu instid0(SALU_CYCLE_1) | instskip(NEXT) | instid1(SALU_CYCLE_1)
	s_bitset1_b32 s0, 10
	s_mov_b32 m0, s0
	s_sendmsg sendmsg(MSG_INTERRUPT)
	s_mov_b32 m0, ttmp2
.LBB4_934:                              ; =>This Inner Loop Header: Depth=1
	s_sethalt 5
	s_branch .LBB4_934
.LBB4_935:
	s_trap 2
	s_sendmsg_rtn_b32 s0, sendmsg(MSG_RTN_GET_DOORBELL)
	s_mov_b32 ttmp2, m0
	s_waitcnt lgkmcnt(0)
	s_and_b32 s0, s0, 0x3ff
	s_delay_alu instid0(SALU_CYCLE_1) | instskip(NEXT) | instid1(SALU_CYCLE_1)
	s_bitset1_b32 s0, 10
	s_mov_b32 m0, s0
	s_sendmsg sendmsg(MSG_INTERRUPT)
	s_mov_b32 m0, ttmp2
.LBB4_936:                              ; =>This Inner Loop Header: Depth=1
	s_sethalt 5
	s_branch .LBB4_936
.LBB4_937:
	s_trap 2
	s_sendmsg_rtn_b32 s0, sendmsg(MSG_RTN_GET_DOORBELL)
	s_mov_b32 ttmp2, m0
	s_waitcnt lgkmcnt(0)
	s_and_b32 s0, s0, 0x3ff
	s_delay_alu instid0(SALU_CYCLE_1) | instskip(NEXT) | instid1(SALU_CYCLE_1)
	s_bitset1_b32 s0, 10
	s_mov_b32 m0, s0
	s_sendmsg sendmsg(MSG_INTERRUPT)
	s_mov_b32 m0, ttmp2
.LBB4_938:                              ; =>This Inner Loop Header: Depth=1
	s_sethalt 5
	s_branch .LBB4_938
.LBB4_939:
	s_trap 2
	s_sendmsg_rtn_b32 s0, sendmsg(MSG_RTN_GET_DOORBELL)
	s_mov_b32 ttmp2, m0
	s_waitcnt lgkmcnt(0)
	s_and_b32 s0, s0, 0x3ff
	s_delay_alu instid0(SALU_CYCLE_1) | instskip(NEXT) | instid1(SALU_CYCLE_1)
	s_bitset1_b32 s0, 10
	s_mov_b32 m0, s0
	s_sendmsg sendmsg(MSG_INTERRUPT)
	s_mov_b32 m0, ttmp2
.LBB4_940:                              ; =>This Inner Loop Header: Depth=1
	s_sethalt 5
	s_branch .LBB4_940
.LBB4_941:
	s_trap 2
	s_sendmsg_rtn_b32 s0, sendmsg(MSG_RTN_GET_DOORBELL)
	s_mov_b32 ttmp2, m0
	s_waitcnt lgkmcnt(0)
	s_and_b32 s0, s0, 0x3ff
	s_delay_alu instid0(SALU_CYCLE_1) | instskip(NEXT) | instid1(SALU_CYCLE_1)
	s_bitset1_b32 s0, 10
	s_mov_b32 m0, s0
	s_sendmsg sendmsg(MSG_INTERRUPT)
	s_mov_b32 m0, ttmp2
.LBB4_942:                              ; =>This Inner Loop Header: Depth=1
	s_sethalt 5
	s_branch .LBB4_942
.LBB4_943:
	s_trap 2
	s_sendmsg_rtn_b32 s0, sendmsg(MSG_RTN_GET_DOORBELL)
	s_mov_b32 ttmp2, m0
	s_waitcnt lgkmcnt(0)
	s_and_b32 s0, s0, 0x3ff
	s_delay_alu instid0(SALU_CYCLE_1) | instskip(NEXT) | instid1(SALU_CYCLE_1)
	s_bitset1_b32 s0, 10
	s_mov_b32 m0, s0
	s_sendmsg sendmsg(MSG_INTERRUPT)
	s_mov_b32 m0, ttmp2
.LBB4_944:                              ; =>This Inner Loop Header: Depth=1
	s_sethalt 5
	s_branch .LBB4_944
.LBB4_945:
	s_trap 2
	s_sendmsg_rtn_b32 s0, sendmsg(MSG_RTN_GET_DOORBELL)
	s_mov_b32 ttmp2, m0
	s_waitcnt lgkmcnt(0)
	s_and_b32 s0, s0, 0x3ff
	s_delay_alu instid0(SALU_CYCLE_1) | instskip(NEXT) | instid1(SALU_CYCLE_1)
	s_bitset1_b32 s0, 10
	s_mov_b32 m0, s0
	s_sendmsg sendmsg(MSG_INTERRUPT)
	s_mov_b32 m0, ttmp2
.LBB4_946:                              ; =>This Inner Loop Header: Depth=1
	s_sethalt 5
	s_branch .LBB4_946
.LBB4_947:
	s_trap 2
	s_sendmsg_rtn_b32 s0, sendmsg(MSG_RTN_GET_DOORBELL)
	s_mov_b32 ttmp2, m0
	s_waitcnt lgkmcnt(0)
	s_and_b32 s0, s0, 0x3ff
	s_delay_alu instid0(SALU_CYCLE_1) | instskip(NEXT) | instid1(SALU_CYCLE_1)
	s_bitset1_b32 s0, 10
	s_mov_b32 m0, s0
	s_sendmsg sendmsg(MSG_INTERRUPT)
	s_mov_b32 m0, ttmp2
.LBB4_948:                              ; =>This Inner Loop Header: Depth=1
	s_sethalt 5
	s_branch .LBB4_948
.LBB4_949:
	s_trap 2
	s_sendmsg_rtn_b32 s0, sendmsg(MSG_RTN_GET_DOORBELL)
	s_mov_b32 ttmp2, m0
	s_waitcnt lgkmcnt(0)
	s_and_b32 s0, s0, 0x3ff
	s_delay_alu instid0(SALU_CYCLE_1) | instskip(NEXT) | instid1(SALU_CYCLE_1)
	s_bitset1_b32 s0, 10
	s_mov_b32 m0, s0
	s_sendmsg sendmsg(MSG_INTERRUPT)
	s_mov_b32 m0, ttmp2
.LBB4_950:                              ; =>This Inner Loop Header: Depth=1
	s_sethalt 5
	s_branch .LBB4_950
.LBB4_951:
	s_trap 2
	s_sendmsg_rtn_b32 s0, sendmsg(MSG_RTN_GET_DOORBELL)
	s_mov_b32 ttmp2, m0
	s_waitcnt lgkmcnt(0)
	s_and_b32 s0, s0, 0x3ff
	s_delay_alu instid0(SALU_CYCLE_1) | instskip(NEXT) | instid1(SALU_CYCLE_1)
	s_bitset1_b32 s0, 10
	s_mov_b32 m0, s0
	s_sendmsg sendmsg(MSG_INTERRUPT)
	s_mov_b32 m0, ttmp2
.LBB4_952:                              ; =>This Inner Loop Header: Depth=1
	s_sethalt 5
	s_branch .LBB4_952
.LBB4_953:
	s_trap 2
	s_sendmsg_rtn_b32 s0, sendmsg(MSG_RTN_GET_DOORBELL)
	s_mov_b32 ttmp2, m0
	s_waitcnt lgkmcnt(0)
	s_and_b32 s0, s0, 0x3ff
	s_delay_alu instid0(SALU_CYCLE_1) | instskip(NEXT) | instid1(SALU_CYCLE_1)
	s_bitset1_b32 s0, 10
	s_mov_b32 m0, s0
	s_sendmsg sendmsg(MSG_INTERRUPT)
	s_mov_b32 m0, ttmp2
.LBB4_954:                              ; =>This Inner Loop Header: Depth=1
	s_sethalt 5
	s_branch .LBB4_954
.LBB4_955:
	s_trap 2
	s_sendmsg_rtn_b32 s0, sendmsg(MSG_RTN_GET_DOORBELL)
	s_mov_b32 ttmp2, m0
	s_waitcnt lgkmcnt(0)
	s_and_b32 s0, s0, 0x3ff
	s_delay_alu instid0(SALU_CYCLE_1) | instskip(NEXT) | instid1(SALU_CYCLE_1)
	s_bitset1_b32 s0, 10
	s_mov_b32 m0, s0
	s_sendmsg sendmsg(MSG_INTERRUPT)
	s_mov_b32 m0, ttmp2
.LBB4_956:                              ; =>This Inner Loop Header: Depth=1
	s_sethalt 5
	s_branch .LBB4_956
.LBB4_957:
	s_trap 2
	s_sendmsg_rtn_b32 s0, sendmsg(MSG_RTN_GET_DOORBELL)
	s_mov_b32 ttmp2, m0
	s_waitcnt lgkmcnt(0)
	s_and_b32 s0, s0, 0x3ff
	s_delay_alu instid0(SALU_CYCLE_1) | instskip(NEXT) | instid1(SALU_CYCLE_1)
	s_bitset1_b32 s0, 10
	s_mov_b32 m0, s0
	s_sendmsg sendmsg(MSG_INTERRUPT)
	s_mov_b32 m0, ttmp2
.LBB4_958:                              ; =>This Inner Loop Header: Depth=1
	s_sethalt 5
	s_branch .LBB4_958
.LBB4_959:
	s_trap 2
	s_sendmsg_rtn_b32 s0, sendmsg(MSG_RTN_GET_DOORBELL)
	s_mov_b32 ttmp2, m0
	s_waitcnt lgkmcnt(0)
	s_and_b32 s0, s0, 0x3ff
	s_delay_alu instid0(SALU_CYCLE_1) | instskip(NEXT) | instid1(SALU_CYCLE_1)
	s_bitset1_b32 s0, 10
	s_mov_b32 m0, s0
	s_sendmsg sendmsg(MSG_INTERRUPT)
	s_mov_b32 m0, ttmp2
.LBB4_960:                              ; =>This Inner Loop Header: Depth=1
	s_sethalt 5
	s_branch .LBB4_960
.LBB4_961:
	s_trap 2
	s_sendmsg_rtn_b32 s0, sendmsg(MSG_RTN_GET_DOORBELL)
	s_mov_b32 ttmp2, m0
	s_waitcnt lgkmcnt(0)
	s_and_b32 s0, s0, 0x3ff
	s_delay_alu instid0(SALU_CYCLE_1) | instskip(NEXT) | instid1(SALU_CYCLE_1)
	s_bitset1_b32 s0, 10
	s_mov_b32 m0, s0
	s_sendmsg sendmsg(MSG_INTERRUPT)
	s_mov_b32 m0, ttmp2
.LBB4_962:                              ; =>This Inner Loop Header: Depth=1
	s_sethalt 5
	s_branch .LBB4_962
.LBB4_963:
	s_trap 2
	s_sendmsg_rtn_b32 s0, sendmsg(MSG_RTN_GET_DOORBELL)
	s_mov_b32 ttmp2, m0
	s_waitcnt lgkmcnt(0)
	s_and_b32 s0, s0, 0x3ff
	s_delay_alu instid0(SALU_CYCLE_1) | instskip(NEXT) | instid1(SALU_CYCLE_1)
	s_bitset1_b32 s0, 10
	s_mov_b32 m0, s0
	s_sendmsg sendmsg(MSG_INTERRUPT)
	s_mov_b32 m0, ttmp2
.LBB4_964:                              ; =>This Inner Loop Header: Depth=1
	s_sethalt 5
	s_branch .LBB4_964
.LBB4_965:
	s_trap 2
	s_sendmsg_rtn_b32 s0, sendmsg(MSG_RTN_GET_DOORBELL)
	s_mov_b32 ttmp2, m0
	s_waitcnt lgkmcnt(0)
	s_and_b32 s0, s0, 0x3ff
	s_delay_alu instid0(SALU_CYCLE_1) | instskip(NEXT) | instid1(SALU_CYCLE_1)
	s_bitset1_b32 s0, 10
	s_mov_b32 m0, s0
	s_sendmsg sendmsg(MSG_INTERRUPT)
	s_mov_b32 m0, ttmp2
.LBB4_966:                              ; =>This Inner Loop Header: Depth=1
	s_sethalt 5
	s_branch .LBB4_966
.LBB4_967:
	s_trap 2
	s_sendmsg_rtn_b32 s0, sendmsg(MSG_RTN_GET_DOORBELL)
	s_mov_b32 ttmp2, m0
	s_waitcnt lgkmcnt(0)
	s_and_b32 s0, s0, 0x3ff
	s_delay_alu instid0(SALU_CYCLE_1) | instskip(NEXT) | instid1(SALU_CYCLE_1)
	s_bitset1_b32 s0, 10
	s_mov_b32 m0, s0
	s_sendmsg sendmsg(MSG_INTERRUPT)
	s_mov_b32 m0, ttmp2
.LBB4_968:                              ; =>This Inner Loop Header: Depth=1
	s_sethalt 5
	s_branch .LBB4_968
.LBB4_969:
	s_trap 2
	s_sendmsg_rtn_b32 s0, sendmsg(MSG_RTN_GET_DOORBELL)
	s_mov_b32 ttmp2, m0
	s_waitcnt lgkmcnt(0)
	s_and_b32 s0, s0, 0x3ff
	s_delay_alu instid0(SALU_CYCLE_1) | instskip(NEXT) | instid1(SALU_CYCLE_1)
	s_bitset1_b32 s0, 10
	s_mov_b32 m0, s0
	s_sendmsg sendmsg(MSG_INTERRUPT)
	s_mov_b32 m0, ttmp2
.LBB4_970:                              ; =>This Inner Loop Header: Depth=1
	s_sethalt 5
	s_branch .LBB4_970
.LBB4_971:
	s_trap 2
	s_sendmsg_rtn_b32 s0, sendmsg(MSG_RTN_GET_DOORBELL)
	s_mov_b32 ttmp2, m0
	s_waitcnt lgkmcnt(0)
	s_and_b32 s0, s0, 0x3ff
	s_delay_alu instid0(SALU_CYCLE_1) | instskip(NEXT) | instid1(SALU_CYCLE_1)
	s_bitset1_b32 s0, 10
	s_mov_b32 m0, s0
	s_sendmsg sendmsg(MSG_INTERRUPT)
	s_mov_b32 m0, ttmp2
.LBB4_972:                              ; =>This Inner Loop Header: Depth=1
	s_sethalt 5
	s_branch .LBB4_972
.LBB4_973:
	s_trap 2
	s_sendmsg_rtn_b32 s0, sendmsg(MSG_RTN_GET_DOORBELL)
	s_mov_b32 ttmp2, m0
	s_waitcnt lgkmcnt(0)
	s_and_b32 s0, s0, 0x3ff
	s_delay_alu instid0(SALU_CYCLE_1) | instskip(NEXT) | instid1(SALU_CYCLE_1)
	s_bitset1_b32 s0, 10
	s_mov_b32 m0, s0
	s_sendmsg sendmsg(MSG_INTERRUPT)
	s_mov_b32 m0, ttmp2
.LBB4_974:                              ; =>This Inner Loop Header: Depth=1
	s_sethalt 5
	s_branch .LBB4_974
.LBB4_975:
	s_trap 2
	s_sendmsg_rtn_b32 s0, sendmsg(MSG_RTN_GET_DOORBELL)
	s_mov_b32 ttmp2, m0
	s_waitcnt lgkmcnt(0)
	s_and_b32 s0, s0, 0x3ff
	s_delay_alu instid0(SALU_CYCLE_1) | instskip(NEXT) | instid1(SALU_CYCLE_1)
	s_bitset1_b32 s0, 10
	s_mov_b32 m0, s0
	s_sendmsg sendmsg(MSG_INTERRUPT)
	s_mov_b32 m0, ttmp2
.LBB4_976:                              ; =>This Inner Loop Header: Depth=1
	s_sethalt 5
	s_branch .LBB4_976
.LBB4_977:
	s_trap 2
	s_sendmsg_rtn_b32 s0, sendmsg(MSG_RTN_GET_DOORBELL)
	s_mov_b32 ttmp2, m0
	s_waitcnt lgkmcnt(0)
	s_and_b32 s0, s0, 0x3ff
	s_delay_alu instid0(SALU_CYCLE_1) | instskip(NEXT) | instid1(SALU_CYCLE_1)
	s_bitset1_b32 s0, 10
	s_mov_b32 m0, s0
	s_sendmsg sendmsg(MSG_INTERRUPT)
	s_mov_b32 m0, ttmp2
.LBB4_978:                              ; =>This Inner Loop Header: Depth=1
	s_sethalt 5
	s_branch .LBB4_978
.LBB4_979:
	s_trap 2
	s_sendmsg_rtn_b32 s0, sendmsg(MSG_RTN_GET_DOORBELL)
	s_mov_b32 ttmp2, m0
	s_waitcnt lgkmcnt(0)
	s_and_b32 s0, s0, 0x3ff
	s_delay_alu instid0(SALU_CYCLE_1) | instskip(NEXT) | instid1(SALU_CYCLE_1)
	s_bitset1_b32 s0, 10
	s_mov_b32 m0, s0
	s_sendmsg sendmsg(MSG_INTERRUPT)
	s_mov_b32 m0, ttmp2
.LBB4_980:                              ; =>This Inner Loop Header: Depth=1
	s_sethalt 5
	s_branch .LBB4_980
.LBB4_981:
	s_trap 2
	s_sendmsg_rtn_b32 s0, sendmsg(MSG_RTN_GET_DOORBELL)
	s_mov_b32 ttmp2, m0
	s_waitcnt lgkmcnt(0)
	s_and_b32 s0, s0, 0x3ff
	s_delay_alu instid0(SALU_CYCLE_1) | instskip(NEXT) | instid1(SALU_CYCLE_1)
	s_bitset1_b32 s0, 10
	s_mov_b32 m0, s0
	s_sendmsg sendmsg(MSG_INTERRUPT)
	s_mov_b32 m0, ttmp2
.LBB4_982:                              ; =>This Inner Loop Header: Depth=1
	s_sethalt 5
	s_branch .LBB4_982
.LBB4_983:
	s_trap 2
	s_sendmsg_rtn_b32 s0, sendmsg(MSG_RTN_GET_DOORBELL)
	s_mov_b32 ttmp2, m0
	s_waitcnt lgkmcnt(0)
	s_and_b32 s0, s0, 0x3ff
	s_delay_alu instid0(SALU_CYCLE_1) | instskip(NEXT) | instid1(SALU_CYCLE_1)
	s_bitset1_b32 s0, 10
	s_mov_b32 m0, s0
	s_sendmsg sendmsg(MSG_INTERRUPT)
	s_mov_b32 m0, ttmp2
.LBB4_984:                              ; =>This Inner Loop Header: Depth=1
	s_sethalt 5
	s_branch .LBB4_984
.Lfunc_end4:
	.size	_ZN12_GLOBAL__N_17runRingIa7FuncSumIaE11ProtoSimpleILi2ELi2ELi0ELi2ELi0ELi0EELi0ELi2ELi0EEEviiP15ncclDevWorkColl, .Lfunc_end4-_ZN12_GLOBAL__N_17runRingIa7FuncSumIaE11ProtoSimpleILi2ELi2ELi0ELi2ELi0ELi0EELi0ELi2ELi0EEEviiP15ncclDevWorkColl
                                        ; -- End function
	.section	.AMDGPU.csdata,"",@progbits
; Function info:
; codeLenInByte = 31144
; NumSgprs: 44
; NumVgprs: 177
; ScratchSize: 80
; MemoryBound: 0
	.text
	.p2align	2                               ; -- Begin function _Z50ncclDevFunc_AlltoAllPivot_RING_SIMPLE_Sum_i8_0_0_2v
	.type	_Z50ncclDevFunc_AlltoAllPivot_RING_SIMPLE_Sum_i8_0_0_2v,@function
_Z50ncclDevFunc_AlltoAllPivot_RING_SIMPLE_Sum_i8_0_0_2v: ; @_Z50ncclDevFunc_AlltoAllPivot_RING_SIMPLE_Sum_i8_0_0_2v
; %bb.0:
	s_waitcnt vmcnt(0) expcnt(0) lgkmcnt(0)
	s_mov_b32 s0, s33
	s_mov_b32 s33, s32
	s_or_saveexec_b32 s1, -1
	scratch_store_b32 off, v40, s33 offset:4 ; 4-byte Folded Spill
	s_mov_b32 exec_lo, s1
	v_writelane_b32 v40, s0, 16
	s_add_i32 s32, s32, 16
	scratch_store_b32 off, v41, s33         ; 4-byte Folded Spill
	v_writelane_b32 v40, s34, 0
	v_writelane_b32 v40, s35, 1
	;; [unrolled: 1-line block ×16, first 2 shown]
	s_cbranch_execnz .LBB5_13
; %bb.1:
	ds_load_b32 v0, v0
	s_waitcnt lgkmcnt(0)
	v_cmp_gt_i32_e32 vcc_lo, 1, v0
	s_cbranch_vccnz .LBB5_12
; %bb.2:
	v_and_b32_e32 v177, 0x3ff, v31
	s_mov_b32 s46, 0
	s_mov_b64 s[44:45], src_shared_base
.LBB5_3:                                ; =>This Inner Loop Header: Depth=1
	s_cbranch_execnz .LBB5_15
; %bb.4:                                ;   in Loop: Header=BB5_3 Depth=1
	ds_load_b32 v0, v0
	s_cmp_eq_u32 s46, 0
	s_cbranch_scc1 .LBB5_8
; %bb.5:                                ;   in Loop: Header=BB5_3 Depth=1
	s_cbranch_execnz .LBB5_19
; %bb.6:                                ;   in Loop: Header=BB5_3 Depth=1
	s_waitcnt lgkmcnt(0)
	ds_load_b32 v1, v0
	s_waitcnt lgkmcnt(0)
	v_xor_b32_e32 v1, v1, v0
	s_delay_alu instid0(VALU_DEP_1) | instskip(NEXT) | instid1(VALU_DEP_1)
	v_and_b32_e32 v1, 0xff0000, v1
	v_cmp_eq_u32_e32 vcc_lo, 0, v1
	s_cbranch_vccnz .LBB5_8
; %bb.7:                                ;   in Loop: Header=BB5_3 Depth=1
	s_waitcnt_vscnt null, 0x0
	s_barrier
	buffer_gl0_inv
	ds_load_b32 v0, v0
.LBB5_8:                                ;   in Loop: Header=BB5_3 Depth=1
	s_waitcnt lgkmcnt(0)
	v_lshrrev_b32_e32 v0, 11, v0
	s_mov_b32 s47, exec_lo
	s_delay_alu instid0(VALU_DEP_1) | instskip(NEXT) | instid1(VALU_DEP_1)
	v_and_b32_e32 v1, 0x1fe0, v0
	v_cmpx_lt_u32_e64 v177, v1
	s_cbranch_execz .LBB5_10
; %bb.9:                                ;   in Loop: Header=BB5_3 Depth=1
	v_dual_mov_b32 v178, v31 :: v_dual_mov_b32 v3, s45
	v_mov_b32_e32 v0, v177
	s_getpc_b64 s[0:1]
	s_add_u32 s0, s0, _ZN12_GLOBAL__N_17runRingIa7FuncSumIaE11ProtoSimpleILi2ELi2ELi0ELi2ELi0ELi0EELi0ELi2ELi0EEEviiP15ncclDevWorkColl@rel32@lo+4
	s_addc_u32 s1, s1, _ZN12_GLOBAL__N_17runRingIa7FuncSumIaE11ProtoSimpleILi2ELi2ELi0ELi2ELi0ELi0EELi0ELi2ELi0EEEviiP15ncclDevWorkColl@rel32@hi+12
	s_mov_b64 s[42:43], s[8:9]
	s_mov_b32 s44, s12
	s_swappc_b64 s[30:31], s[0:1]
	v_mov_b32_e32 v31, v178
	s_mov_b32 s12, s44
	s_mov_b64 s[8:9], s[42:43]
.LBB5_10:                               ;   in Loop: Header=BB5_3 Depth=1
	s_or_b32 exec_lo, exec_lo, s47
	s_cbranch_execnz .LBB5_17
; %bb.11:                               ;   in Loop: Header=BB5_3 Depth=1
	ds_load_b32 v0, v0
	s_add_i32 s46, s46, 1
	s_waitcnt lgkmcnt(0)
	v_cmp_lt_i32_e32 vcc_lo, s46, v0
	s_cbranch_vccnz .LBB5_3
.LBB5_12:
	scratch_load_b32 v41, off, s33          ; 4-byte Folded Reload
	v_readlane_b32 s30, v40, 14
	v_readlane_b32 s31, v40, 15
	;; [unrolled: 1-line block ×17, first 2 shown]
	s_or_saveexec_b32 s1, -1
	scratch_load_b32 v40, off, s33 offset:4 ; 4-byte Folded Reload
	s_mov_b32 exec_lo, s1
	s_add_i32 s32, s32, -16
	s_mov_b32 s33, s0
	s_waitcnt vmcnt(0)
	s_setpc_b64 s[30:31]
.LBB5_13:
	s_trap 2
	s_sendmsg_rtn_b32 s0, sendmsg(MSG_RTN_GET_DOORBELL)
	s_mov_b32 ttmp2, m0
	s_waitcnt lgkmcnt(0)
	s_and_b32 s0, s0, 0x3ff
	s_delay_alu instid0(SALU_CYCLE_1) | instskip(NEXT) | instid1(SALU_CYCLE_1)
	s_bitset1_b32 s0, 10
	s_mov_b32 m0, s0
	s_sendmsg sendmsg(MSG_INTERRUPT)
	s_mov_b32 m0, ttmp2
.LBB5_14:                               ; =>This Inner Loop Header: Depth=1
	s_sethalt 5
	s_branch .LBB5_14
.LBB5_15:
	s_trap 2
	s_sendmsg_rtn_b32 s0, sendmsg(MSG_RTN_GET_DOORBELL)
	s_mov_b32 ttmp2, m0
	s_waitcnt lgkmcnt(0)
	s_and_b32 s0, s0, 0x3ff
	s_delay_alu instid0(SALU_CYCLE_1) | instskip(NEXT) | instid1(SALU_CYCLE_1)
	s_bitset1_b32 s0, 10
	s_mov_b32 m0, s0
	s_sendmsg sendmsg(MSG_INTERRUPT)
	s_mov_b32 m0, ttmp2
.LBB5_16:                               ; =>This Inner Loop Header: Depth=1
	s_sethalt 5
	s_branch .LBB5_16
.LBB5_17:
	s_trap 2
	s_sendmsg_rtn_b32 s0, sendmsg(MSG_RTN_GET_DOORBELL)
	s_mov_b32 ttmp2, m0
	s_waitcnt lgkmcnt(0)
	s_and_b32 s0, s0, 0x3ff
	s_delay_alu instid0(SALU_CYCLE_1) | instskip(NEXT) | instid1(SALU_CYCLE_1)
	s_bitset1_b32 s0, 10
	s_mov_b32 m0, s0
	s_sendmsg sendmsg(MSG_INTERRUPT)
	s_mov_b32 m0, ttmp2
.LBB5_18:                               ; =>This Inner Loop Header: Depth=1
	s_sethalt 5
	s_branch .LBB5_18
.LBB5_19:
	s_trap 2
	s_sendmsg_rtn_b32 s0, sendmsg(MSG_RTN_GET_DOORBELL)
	s_mov_b32 ttmp2, m0
	s_waitcnt lgkmcnt(0)
	s_and_b32 s0, s0, 0x3ff
	s_delay_alu instid0(SALU_CYCLE_1) | instskip(NEXT) | instid1(SALU_CYCLE_1)
	s_bitset1_b32 s0, 10
	s_mov_b32 m0, s0
	s_sendmsg sendmsg(MSG_INTERRUPT)
	s_mov_b32 m0, ttmp2
.LBB5_20:                               ; =>This Inner Loop Header: Depth=1
	s_sethalt 5
	s_branch .LBB5_20
.Lfunc_end5:
	.size	_Z50ncclDevFunc_AlltoAllPivot_RING_SIMPLE_Sum_i8_0_0_2v, .Lfunc_end5-_Z50ncclDevFunc_AlltoAllPivot_RING_SIMPLE_Sum_i8_0_0_2v
                                        ; -- End function
	.section	.AMDGPU.csdata,"",@progbits
; Function info:
; codeLenInByte = 812
; NumSgprs: 50
; NumVgprs: 179
; ScratchSize: 96
; MemoryBound: 0
	.text
	.p2align	2                               ; -- Begin function _ZN12_GLOBAL__N_17runRingIa7FuncSumIaE11ProtoSimpleILi2ELi2ELi0ELi4ELi0ELi0EELi0ELi4ELi0EEEviiP15ncclDevWorkColl
	.type	_ZN12_GLOBAL__N_17runRingIa7FuncSumIaE11ProtoSimpleILi2ELi2ELi0ELi4ELi0ELi0EELi0ELi4ELi0EEEviiP15ncclDevWorkColl,@function
_ZN12_GLOBAL__N_17runRingIa7FuncSumIaE11ProtoSimpleILi2ELi2ELi0ELi4ELi0ELi0EELi0ELi4ELi0EEEviiP15ncclDevWorkColl: ; @_ZN12_GLOBAL__N_17runRingIa7FuncSumIaE11ProtoSimpleILi2ELi2ELi0ELi4ELi0ELi0EELi0ELi4ELi0EEEviiP15ncclDevWorkColl
; %bb.0:
	s_waitcnt vmcnt(0) expcnt(0) lgkmcnt(0)
	s_mov_b32 s0, s33
	s_mov_b32 s33, s32
	s_or_saveexec_b32 s1, -1
	scratch_store_b32 off, v59, s33 offset:44 ; 4-byte Folded Spill
	s_mov_b32 exec_lo, s1
	v_writelane_b32 v59, s0, 10
	s_add_i32 s32, s32, 64
	s_clause 0xa
	scratch_store_b32 off, v40, s33 offset:40
	; meta instruction
	scratch_store_b32 off, v41, s33 offset:36
	; meta instruction
	;; [unrolled: 2-line block ×10, first 2 shown]
	scratch_store_b32 off, v58, s33
	v_writelane_b32 v59, s34, 0
	v_writelane_b32 v59, s35, 1
	;; [unrolled: 1-line block ×10, first 2 shown]
	s_cbranch_execnz .LBB6_704
; %bb.1:
	s_clause 0x2
	flat_load_b32 v10, v[2:3]
	flat_load_b128 v[4:7], v[2:3] offset:72
	flat_load_b64 v[8:9], v[2:3] offset:88
	ds_load_b32 v14, v0
	s_mov_b32 s0, exec_lo
                                        ; implicit-def: $vgpr27_vgpr28
	s_waitcnt lgkmcnt(0)
	v_readfirstlane_b32 s13, v14
	s_waitcnt vmcnt(2)
	v_and_b32_e32 v12, 0xff, v10
	v_bfe_u32 v13, v10, 8, 8
	s_delay_alu instid0(VALU_DEP_2)
	v_cmpx_ne_u32_e64 v14, v12
	s_xor_b32 s0, exec_lo, s0
	s_cbranch_execz .LBB6_7
; %bb.2:
	flat_load_b64 v[10:11], v[2:3] offset:96
	s_mov_b32 s1, exec_lo
                                        ; implicit-def: $vgpr27_vgpr28
	v_cmpx_ne_u32_e64 v13, v14
	s_xor_b32 s1, exec_lo, s1
	s_cbranch_execz .LBB6_4
; %bb.3:
	s_waitcnt vmcnt(0) lgkmcnt(0)
	v_lshrrev_b64 v[27:28], 12, v[10:11]
                                        ; implicit-def: $vgpr10_vgpr11
.LBB6_4:
	s_and_not1_saveexec_b32 s1, s1
	s_cbranch_execz .LBB6_6
; %bb.5:
	s_waitcnt vmcnt(0) lgkmcnt(0)
	v_lshrrev_b32_e32 v27, 1, v11
.LBB6_6:
	s_or_b32 exec_lo, exec_lo, s1
.LBB6_7:
	s_and_not1_saveexec_b32 s0, s0
	s_cbranch_execz .LBB6_9
; %bb.8:
	s_waitcnt vmcnt(0) lgkmcnt(0)
	flat_load_b64 v[10:11], v[2:3] offset:96
	s_waitcnt vmcnt(0) lgkmcnt(0)
	v_lshlrev_b64 v[27:28], 9, v[10:11]
.LBB6_9:
	s_or_b32 exec_lo, exec_lo, s0
	flat_load_u16 v15, v[2:3] offset:8
	v_xad_u32 v16, v12, -1, v13
	v_sub_nc_u32_e32 v26, v14, v12
                                        ; implicit-def: $vgpr28_vgpr29
	s_mov_b32 s0, exec_lo
	s_delay_alu instid0(VALU_DEP_2)
	v_ashrrev_i32_e32 v17, 31, v16
	s_waitcnt vmcnt(2)
	v_mul_lo_u32 v7, v7, v16
	s_waitcnt vmcnt(1) lgkmcnt(1)
	v_mad_u64_u32 v[10:11], null, v6, v16, v[4:5]
	v_mul_lo_u32 v4, v6, v17
	s_delay_alu instid0(VALU_DEP_2) | instskip(NEXT) | instid1(VALU_DEP_2)
	v_add_co_u32 v87, vcc_lo, v10, v8
	v_add3_u32 v4, v7, v11, v4
	s_delay_alu instid0(VALU_DEP_1) | instskip(NEXT) | instid1(VALU_DEP_3)
	v_add_co_ci_u32_e32 v96, vcc_lo, v4, v9, vcc_lo
	v_sub_co_u32 v6, vcc_lo, 0, v87
	v_sub_nc_u32_e32 v9, 0, v26
	s_delay_alu instid0(VALU_DEP_3) | instskip(NEXT) | instid1(VALU_DEP_3)
	v_sub_co_ci_u32_e32 v4, vcc_lo, 0, v96, vcc_lo
	v_and_b32_e32 v6, v87, v6
	s_delay_alu instid0(VALU_DEP_3) | instskip(NEXT) | instid1(VALU_DEP_3)
	v_max_i32_e32 v35, v26, v9
	v_and_b32_e32 v4, v96, v4
	s_delay_alu instid0(VALU_DEP_3) | instskip(NEXT) | instid1(VALU_DEP_2)
	v_cvt_f64_u32_e32 v[6:7], v6
	v_cvt_f64_u32_e32 v[4:5], v4
	s_delay_alu instid0(VALU_DEP_1) | instskip(NEXT) | instid1(VALU_DEP_1)
	v_ldexp_f64 v[4:5], v[4:5], 32
	v_add_f64 v[4:5], v[4:5], v[6:7]
	s_delay_alu instid0(VALU_DEP_1) | instskip(NEXT) | instid1(VALU_DEP_1)
	v_min_f64 v[4:5], 0x40700000, v[4:5]
	v_cvt_i32_f64_e32 v50, v[4:5]
	s_delay_alu instid0(VALU_DEP_1) | instskip(SKIP_2) | instid1(VALU_DEP_1)
	v_ashrrev_i32_e32 v51, 31, v50
	s_waitcnt vmcnt(0) lgkmcnt(0)
	v_lshrrev_b32_e32 v34, 1, v15
	v_lshlrev_b32_e32 v7, 1, v34
	s_delay_alu instid0(VALU_DEP_1) | instskip(NEXT) | instid1(VALU_DEP_1)
	v_sub_nc_u32_e32 v6, 0, v7
	v_max_i32_e32 v4, v7, v6
	v_or_b32_e32 v6, v96, v51
	s_delay_alu instid0(VALU_DEP_2) | instskip(NEXT) | instid1(VALU_DEP_1)
	v_cvt_f32_u32_e32 v5, v4
	v_rcp_iflag_f32_e32 v5, v5
	s_waitcnt_depctr 0xfff
	v_mul_f32_e32 v5, 0x4f7ffffe, v5
	s_delay_alu instid0(VALU_DEP_1) | instskip(SKIP_1) | instid1(VALU_DEP_1)
	v_cvt_u32_f32_e32 v8, v5
	v_sub_nc_u32_e32 v5, 0, v4
	v_mul_lo_u32 v5, v5, v8
	s_delay_alu instid0(VALU_DEP_1) | instskip(NEXT) | instid1(VALU_DEP_1)
	v_mul_hi_u32 v10, v8, v5
	v_dual_mov_b32 v5, 0 :: v_dual_add_nc_u32 v8, v8, v10
	s_delay_alu instid0(VALU_DEP_1)
	v_cmpx_ne_u64_e32 0, v[5:6]
	s_xor_b32 s1, exec_lo, s0
	s_cbranch_execz .LBB6_11
; %bb.10:
	v_cvt_f32_u32_e32 v5, v50
	v_cvt_f32_u32_e32 v6, v51
	v_sub_co_u32 v11, vcc_lo, 0, v50
	v_sub_co_ci_u32_e32 v16, vcc_lo, 0, v51, vcc_lo
	s_delay_alu instid0(VALU_DEP_3) | instskip(NEXT) | instid1(VALU_DEP_1)
	v_fmamk_f32 v5, v6, 0x4f800000, v5
	v_rcp_f32_e32 v5, v5
	s_waitcnt_depctr 0xfff
	v_mul_f32_e32 v5, 0x5f7ffffc, v5
	s_delay_alu instid0(VALU_DEP_1) | instskip(NEXT) | instid1(VALU_DEP_1)
	v_mul_f32_e32 v6, 0x2f800000, v5
	v_trunc_f32_e32 v6, v6
	s_delay_alu instid0(VALU_DEP_1) | instskip(SKIP_1) | instid1(VALU_DEP_2)
	v_fmamk_f32 v5, v6, 0xcf800000, v5
	v_cvt_u32_f32_e32 v17, v6
	v_cvt_u32_f32_e32 v18, v5
	s_delay_alu instid0(VALU_DEP_2) | instskip(NEXT) | instid1(VALU_DEP_2)
	v_mul_lo_u32 v9, v11, v17
	v_mul_lo_u32 v10, v16, v18
	v_mad_u64_u32 v[5:6], null, v11, v18, 0
	s_delay_alu instid0(VALU_DEP_1) | instskip(NEXT) | instid1(VALU_DEP_2)
	v_add3_u32 v19, v6, v9, v10
	v_mul_hi_u32 v20, v18, v5
	v_mad_u64_u32 v[14:15], null, v17, v5, 0
	s_delay_alu instid0(VALU_DEP_3) | instskip(SKIP_1) | instid1(VALU_DEP_2)
	v_mad_u64_u32 v[9:10], null, v18, v19, 0
	v_mad_u64_u32 v[5:6], null, v17, v19, 0
	v_add_co_u32 v9, vcc_lo, v20, v9
	s_delay_alu instid0(VALU_DEP_3) | instskip(NEXT) | instid1(VALU_DEP_2)
	v_add_co_ci_u32_e32 v10, vcc_lo, 0, v10, vcc_lo
	v_add_co_u32 v9, vcc_lo, v9, v14
	s_delay_alu instid0(VALU_DEP_2) | instskip(SKIP_1) | instid1(VALU_DEP_2)
	v_add_co_ci_u32_e32 v9, vcc_lo, v10, v15, vcc_lo
	v_add_co_ci_u32_e32 v6, vcc_lo, 0, v6, vcc_lo
	v_add_co_u32 v5, vcc_lo, v9, v5
	s_delay_alu instid0(VALU_DEP_2) | instskip(NEXT) | instid1(VALU_DEP_2)
	v_add_co_ci_u32_e32 v6, vcc_lo, 0, v6, vcc_lo
	v_add_co_u32 v18, vcc_lo, v18, v5
	s_delay_alu instid0(VALU_DEP_2) | instskip(NEXT) | instid1(VALU_DEP_2)
	v_add_co_ci_u32_e32 v17, vcc_lo, v17, v6, vcc_lo
	v_mul_lo_u32 v9, v16, v18
	v_mad_u64_u32 v[5:6], null, v11, v18, 0
	s_delay_alu instid0(VALU_DEP_3) | instskip(NEXT) | instid1(VALU_DEP_2)
	v_mul_lo_u32 v10, v11, v17
	v_mul_hi_u32 v16, v18, v5
	v_mad_u64_u32 v[14:15], null, v17, v5, 0
	s_delay_alu instid0(VALU_DEP_3) | instskip(NEXT) | instid1(VALU_DEP_1)
	v_add3_u32 v11, v6, v10, v9
	v_mad_u64_u32 v[9:10], null, v18, v11, 0
	v_mad_u64_u32 v[5:6], null, v17, v11, 0
	s_delay_alu instid0(VALU_DEP_2) | instskip(NEXT) | instid1(VALU_DEP_3)
	v_add_co_u32 v9, vcc_lo, v16, v9
	v_add_co_ci_u32_e32 v10, vcc_lo, 0, v10, vcc_lo
	s_delay_alu instid0(VALU_DEP_2) | instskip(NEXT) | instid1(VALU_DEP_2)
	v_add_co_u32 v9, vcc_lo, v9, v14
	v_add_co_ci_u32_e32 v9, vcc_lo, v10, v15, vcc_lo
	v_add_co_ci_u32_e32 v6, vcc_lo, 0, v6, vcc_lo
	s_delay_alu instid0(VALU_DEP_2) | instskip(NEXT) | instid1(VALU_DEP_2)
	v_add_co_u32 v5, vcc_lo, v9, v5
	v_add_co_ci_u32_e32 v6, vcc_lo, 0, v6, vcc_lo
	s_delay_alu instid0(VALU_DEP_2) | instskip(NEXT) | instid1(VALU_DEP_2)
	v_add_co_u32 v11, vcc_lo, v18, v5
	v_add_co_ci_u32_e32 v16, vcc_lo, v17, v6, vcc_lo
	s_delay_alu instid0(VALU_DEP_2) | instskip(SKIP_1) | instid1(VALU_DEP_3)
	v_mul_hi_u32 v17, v87, v11
	v_mad_u64_u32 v[9:10], null, v96, v11, 0
	v_mad_u64_u32 v[5:6], null, v87, v16, 0
	;; [unrolled: 1-line block ×3, first 2 shown]
	s_delay_alu instid0(VALU_DEP_2) | instskip(NEXT) | instid1(VALU_DEP_3)
	v_add_co_u32 v5, vcc_lo, v17, v5
	v_add_co_ci_u32_e32 v6, vcc_lo, 0, v6, vcc_lo
	s_delay_alu instid0(VALU_DEP_2) | instskip(NEXT) | instid1(VALU_DEP_2)
	v_add_co_u32 v5, vcc_lo, v5, v9
	v_add_co_ci_u32_e32 v5, vcc_lo, v6, v10, vcc_lo
	v_add_co_ci_u32_e32 v6, vcc_lo, 0, v15, vcc_lo
	s_delay_alu instid0(VALU_DEP_2) | instskip(NEXT) | instid1(VALU_DEP_2)
	v_add_co_u32 v9, vcc_lo, v5, v14
	v_add_co_ci_u32_e32 v10, vcc_lo, 0, v6, vcc_lo
	s_delay_alu instid0(VALU_DEP_2) | instskip(SKIP_1) | instid1(VALU_DEP_3)
	v_mul_lo_u32 v11, v51, v9
	v_mad_u64_u32 v[5:6], null, v50, v9, 0
	v_mul_lo_u32 v14, v50, v10
	s_delay_alu instid0(VALU_DEP_2) | instskip(NEXT) | instid1(VALU_DEP_2)
	v_sub_co_u32 v5, vcc_lo, v87, v5
	v_add3_u32 v6, v6, v14, v11
	s_delay_alu instid0(VALU_DEP_1) | instskip(NEXT) | instid1(VALU_DEP_1)
	v_sub_nc_u32_e32 v11, v96, v6
	v_sub_co_ci_u32_e64 v11, s0, v11, v51, vcc_lo
	v_add_co_u32 v14, s0, v9, 2
	s_delay_alu instid0(VALU_DEP_1) | instskip(SKIP_3) | instid1(VALU_DEP_3)
	v_add_co_ci_u32_e64 v15, s0, 0, v10, s0
	v_sub_co_u32 v16, s0, v5, v50
	v_sub_co_ci_u32_e32 v6, vcc_lo, v96, v6, vcc_lo
	v_subrev_co_ci_u32_e64 v11, s0, 0, v11, s0
	v_cmp_ge_u32_e32 vcc_lo, v16, v50
	s_delay_alu instid0(VALU_DEP_3) | instskip(SKIP_1) | instid1(VALU_DEP_4)
	v_cmp_eq_u32_e64 s0, v6, v51
	v_cndmask_b32_e64 v16, 0, -1, vcc_lo
	v_cmp_ge_u32_e32 vcc_lo, v11, v51
	v_cndmask_b32_e64 v17, 0, -1, vcc_lo
	v_cmp_ge_u32_e32 vcc_lo, v5, v50
	;; [unrolled: 2-line block ×3, first 2 shown]
	v_cndmask_b32_e64 v18, 0, -1, vcc_lo
	v_cmp_eq_u32_e32 vcc_lo, v11, v51
	s_delay_alu instid0(VALU_DEP_2) | instskip(SKIP_3) | instid1(VALU_DEP_3)
	v_cndmask_b32_e64 v5, v18, v5, s0
	v_cndmask_b32_e32 v11, v17, v16, vcc_lo
	v_add_co_u32 v16, vcc_lo, v9, 1
	v_add_co_ci_u32_e32 v17, vcc_lo, 0, v10, vcc_lo
	v_cmp_ne_u32_e32 vcc_lo, 0, v11
	s_delay_alu instid0(VALU_DEP_2) | instskip(SKIP_1) | instid1(VALU_DEP_2)
	v_dual_cndmask_b32 v6, v17, v15 :: v_dual_cndmask_b32 v11, v16, v14
	v_cmp_ne_u32_e32 vcc_lo, 0, v5
	v_dual_cndmask_b32 v29, v10, v6 :: v_dual_cndmask_b32 v28, v9, v11
.LBB6_11:
	s_or_saveexec_b32 s0, s1
	v_mad_u64_u32 v[5:6], null, v35, v8, 0
	s_xor_b32 exec_lo, exec_lo, s0
	s_cbranch_execz .LBB6_13
; %bb.12:
	v_cvt_f32_u32_e32 v5, v50
	v_sub_nc_u32_e32 v8, 0, v50
	v_mov_b32_e32 v29, 0
	s_delay_alu instid0(VALU_DEP_3) | instskip(SKIP_2) | instid1(VALU_DEP_1)
	v_rcp_iflag_f32_e32 v5, v5
	s_waitcnt_depctr 0xfff
	v_mul_f32_e32 v5, 0x4f7ffffe, v5
	v_cvt_u32_f32_e32 v5, v5
	s_delay_alu instid0(VALU_DEP_1) | instskip(NEXT) | instid1(VALU_DEP_1)
	v_mul_lo_u32 v8, v8, v5
	v_mul_hi_u32 v8, v5, v8
	s_delay_alu instid0(VALU_DEP_1) | instskip(NEXT) | instid1(VALU_DEP_1)
	v_add_nc_u32_e32 v5, v5, v8
	v_mul_hi_u32 v5, v87, v5
	s_delay_alu instid0(VALU_DEP_1) | instskip(SKIP_1) | instid1(VALU_DEP_2)
	v_mul_lo_u32 v8, v5, v50
	v_add_nc_u32_e32 v9, 1, v5
	v_sub_nc_u32_e32 v8, v87, v8
	s_delay_alu instid0(VALU_DEP_1) | instskip(SKIP_1) | instid1(VALU_DEP_2)
	v_sub_nc_u32_e32 v10, v8, v50
	v_cmp_ge_u32_e32 vcc_lo, v8, v50
	v_dual_cndmask_b32 v8, v8, v10 :: v_dual_cndmask_b32 v5, v5, v9
	s_delay_alu instid0(VALU_DEP_1) | instskip(NEXT) | instid1(VALU_DEP_2)
	v_cmp_ge_u32_e32 vcc_lo, v8, v50
	v_add_nc_u32_e32 v9, 1, v5
	s_delay_alu instid0(VALU_DEP_1)
	v_cndmask_b32_e32 v28, v5, v9, vcc_lo
.LBB6_13:
	s_or_b32 exec_lo, exec_lo, s0
	v_sub_nc_u32_e32 v5, v13, v12
                                        ; implicit-def: $vgpr48_vgpr49
	s_mov_b32 s0, exec_lo
	s_delay_alu instid0(VALU_DEP_1) | instskip(NEXT) | instid1(VALU_DEP_1)
	v_add_nc_u16 v5, v5, 1
	v_lshrrev_b16 v8, 15, v5
	s_delay_alu instid0(VALU_DEP_1) | instskip(SKIP_1) | instid1(VALU_DEP_2)
	v_add_nc_u16 v5, v5, v8
	v_mov_b32_e32 v8, 0
	v_ashrrev_i16 v5, 1, v5
	s_delay_alu instid0(VALU_DEP_1) | instskip(NEXT) | instid1(VALU_DEP_1)
	v_bfe_i32 v36, v5, 0, 16
	v_ashrrev_i32_e32 v5, 31, v36
	s_delay_alu instid0(VALU_DEP_1) | instskip(NEXT) | instid1(VALU_DEP_1)
	v_or_b32_e32 v9, v29, v5
	v_cmpx_ne_u64_e32 0, v[8:9]
	s_xor_b32 s1, exec_lo, s0
	s_cbranch_execz .LBB6_15
; %bb.14:
	v_mov_b32_e32 v15, v5
	v_mov_b32_e32 v16, v5
	s_delay_alu instid0(VALU_DEP_2) | instskip(NEXT) | instid1(VALU_DEP_2)
	v_add_co_u32 v8, vcc_lo, v36, v15
	v_add_co_ci_u32_e32 v5, vcc_lo, v5, v16, vcc_lo
	s_delay_alu instid0(VALU_DEP_2) | instskip(NEXT) | instid1(VALU_DEP_2)
	v_xor_b32_e32 v17, v8, v15
	v_xor_b32_e32 v5, v5, v16
	s_delay_alu instid0(VALU_DEP_2) | instskip(SKIP_1) | instid1(VALU_DEP_3)
	v_cvt_f32_u32_e32 v8, v17
	v_sub_co_u32 v18, vcc_lo, 0, v17
	v_cvt_f32_u32_e32 v9, v5
	v_sub_co_ci_u32_e32 v19, vcc_lo, 0, v5, vcc_lo
	s_delay_alu instid0(VALU_DEP_2) | instskip(NEXT) | instid1(VALU_DEP_1)
	v_fmamk_f32 v8, v9, 0x4f800000, v8
	v_rcp_f32_e32 v8, v8
	s_waitcnt_depctr 0xfff
	v_mul_f32_e32 v8, 0x5f7ffffc, v8
	s_delay_alu instid0(VALU_DEP_1) | instskip(NEXT) | instid1(VALU_DEP_1)
	v_mul_f32_e32 v9, 0x2f800000, v8
	v_trunc_f32_e32 v9, v9
	s_delay_alu instid0(VALU_DEP_1) | instskip(SKIP_1) | instid1(VALU_DEP_2)
	v_fmamk_f32 v8, v9, 0xcf800000, v8
	v_cvt_u32_f32_e32 v20, v9
	v_cvt_u32_f32_e32 v21, v8
	s_delay_alu instid0(VALU_DEP_2) | instskip(NEXT) | instid1(VALU_DEP_2)
	v_mul_lo_u32 v10, v18, v20
	v_mul_lo_u32 v11, v19, v21
	v_mad_u64_u32 v[8:9], null, v18, v21, 0
	s_delay_alu instid0(VALU_DEP_1) | instskip(NEXT) | instid1(VALU_DEP_2)
	v_add3_u32 v22, v9, v10, v11
	v_mul_hi_u32 v23, v21, v8
	v_mad_u64_u32 v[11:12], null, v20, v8, 0
	s_delay_alu instid0(VALU_DEP_3) | instskip(SKIP_1) | instid1(VALU_DEP_2)
	v_mad_u64_u32 v[9:10], null, v21, v22, 0
	v_mad_u64_u32 v[13:14], null, v20, v22, 0
	v_add_co_u32 v8, vcc_lo, v23, v9
	s_delay_alu instid0(VALU_DEP_3) | instskip(NEXT) | instid1(VALU_DEP_2)
	v_add_co_ci_u32_e32 v9, vcc_lo, 0, v10, vcc_lo
	v_add_co_u32 v8, vcc_lo, v8, v11
	s_delay_alu instid0(VALU_DEP_2) | instskip(SKIP_1) | instid1(VALU_DEP_2)
	v_add_co_ci_u32_e32 v8, vcc_lo, v9, v12, vcc_lo
	v_add_co_ci_u32_e32 v9, vcc_lo, 0, v14, vcc_lo
	v_add_co_u32 v8, vcc_lo, v8, v13
	s_delay_alu instid0(VALU_DEP_2) | instskip(NEXT) | instid1(VALU_DEP_2)
	v_add_co_ci_u32_e32 v9, vcc_lo, 0, v9, vcc_lo
	v_add_co_u32 v21, vcc_lo, v21, v8
	s_delay_alu instid0(VALU_DEP_2) | instskip(NEXT) | instid1(VALU_DEP_2)
	v_add_co_ci_u32_e32 v20, vcc_lo, v20, v9, vcc_lo
	v_mul_lo_u32 v10, v19, v21
	v_mad_u64_u32 v[8:9], null, v18, v21, 0
	s_delay_alu instid0(VALU_DEP_3) | instskip(NEXT) | instid1(VALU_DEP_2)
	v_mul_lo_u32 v11, v18, v20
	v_mul_hi_u32 v19, v21, v8
	s_delay_alu instid0(VALU_DEP_2) | instskip(SKIP_1) | instid1(VALU_DEP_2)
	v_add3_u32 v18, v9, v11, v10
	v_mad_u64_u32 v[11:12], null, v20, v8, 0
	v_mad_u64_u32 v[9:10], null, v21, v18, 0
	;; [unrolled: 1-line block ×3, first 2 shown]
	v_ashrrev_i32_e32 v18, 31, v29
	s_delay_alu instid0(VALU_DEP_3) | instskip(NEXT) | instid1(VALU_DEP_4)
	v_add_co_u32 v8, vcc_lo, v19, v9
	v_add_co_ci_u32_e32 v9, vcc_lo, 0, v10, vcc_lo
	s_delay_alu instid0(VALU_DEP_2) | instskip(NEXT) | instid1(VALU_DEP_2)
	v_add_co_u32 v8, vcc_lo, v8, v11
	v_add_co_ci_u32_e32 v8, vcc_lo, v9, v12, vcc_lo
	v_add_co_ci_u32_e32 v9, vcc_lo, 0, v14, vcc_lo
	v_add_co_u32 v10, vcc_lo, v28, v18
	v_add_co_ci_u32_e32 v11, vcc_lo, v29, v18, vcc_lo
	s_delay_alu instid0(VALU_DEP_4) | instskip(NEXT) | instid1(VALU_DEP_4)
	v_add_co_u32 v8, vcc_lo, v8, v13
	v_add_co_ci_u32_e32 v9, vcc_lo, 0, v9, vcc_lo
	s_delay_alu instid0(VALU_DEP_4) | instskip(NEXT) | instid1(VALU_DEP_3)
	v_xor_b32_e32 v14, v10, v18
	v_add_co_u32 v12, vcc_lo, v21, v8
	s_delay_alu instid0(VALU_DEP_3) | instskip(SKIP_1) | instid1(VALU_DEP_3)
	v_add_co_ci_u32_e32 v19, vcc_lo, v20, v9, vcc_lo
	v_xor_b32_e32 v20, v11, v18
	v_mul_hi_u32 v21, v14, v12
	s_delay_alu instid0(VALU_DEP_3) | instskip(NEXT) | instid1(VALU_DEP_3)
	v_mad_u64_u32 v[8:9], null, v14, v19, 0
	v_mad_u64_u32 v[10:11], null, v20, v12, 0
	;; [unrolled: 1-line block ×3, first 2 shown]
	s_delay_alu instid0(VALU_DEP_3) | instskip(NEXT) | instid1(VALU_DEP_4)
	v_add_co_u32 v8, vcc_lo, v21, v8
	v_add_co_ci_u32_e32 v9, vcc_lo, 0, v9, vcc_lo
	s_delay_alu instid0(VALU_DEP_2) | instskip(NEXT) | instid1(VALU_DEP_2)
	v_add_co_u32 v8, vcc_lo, v8, v10
	v_add_co_ci_u32_e32 v8, vcc_lo, v9, v11, vcc_lo
	v_add_co_ci_u32_e32 v9, vcc_lo, 0, v13, vcc_lo
	s_delay_alu instid0(VALU_DEP_2) | instskip(NEXT) | instid1(VALU_DEP_2)
	v_add_co_u32 v10, vcc_lo, v8, v12
	v_add_co_ci_u32_e32 v11, vcc_lo, 0, v9, vcc_lo
	s_delay_alu instid0(VALU_DEP_2) | instskip(SKIP_1) | instid1(VALU_DEP_3)
	v_mul_lo_u32 v12, v5, v10
	v_mad_u64_u32 v[8:9], null, v17, v10, 0
	v_mul_lo_u32 v13, v17, v11
	s_delay_alu instid0(VALU_DEP_2) | instskip(NEXT) | instid1(VALU_DEP_2)
	v_sub_co_u32 v8, vcc_lo, v14, v8
	v_add3_u32 v9, v9, v13, v12
	s_delay_alu instid0(VALU_DEP_1) | instskip(NEXT) | instid1(VALU_DEP_1)
	v_sub_nc_u32_e32 v12, v20, v9
	v_sub_co_ci_u32_e64 v12, s0, v12, v5, vcc_lo
	v_add_co_u32 v13, s0, v10, 2
	s_delay_alu instid0(VALU_DEP_1) | instskip(SKIP_3) | instid1(VALU_DEP_3)
	v_add_co_ci_u32_e64 v14, s0, 0, v11, s0
	v_sub_co_u32 v19, s0, v8, v17
	v_sub_co_ci_u32_e32 v9, vcc_lo, v20, v9, vcc_lo
	v_subrev_co_ci_u32_e64 v12, s0, 0, v12, s0
	v_cmp_ge_u32_e32 vcc_lo, v19, v17
	s_delay_alu instid0(VALU_DEP_3) | instskip(SKIP_1) | instid1(VALU_DEP_4)
	v_cmp_eq_u32_e64 s0, v9, v5
	v_cndmask_b32_e64 v19, 0, -1, vcc_lo
	v_cmp_ge_u32_e32 vcc_lo, v12, v5
	v_cndmask_b32_e64 v20, 0, -1, vcc_lo
	v_cmp_ge_u32_e32 vcc_lo, v8, v17
	;; [unrolled: 2-line block ×3, first 2 shown]
	v_cndmask_b32_e64 v17, 0, -1, vcc_lo
	v_cmp_eq_u32_e32 vcc_lo, v12, v5
	s_delay_alu instid0(VALU_DEP_2) | instskip(SKIP_3) | instid1(VALU_DEP_3)
	v_cndmask_b32_e64 v5, v17, v8, s0
	v_cndmask_b32_e32 v12, v20, v19, vcc_lo
	v_add_co_u32 v19, vcc_lo, v10, 1
	v_add_co_ci_u32_e32 v20, vcc_lo, 0, v11, vcc_lo
	v_cmp_ne_u32_e32 vcc_lo, 0, v12
	s_delay_alu instid0(VALU_DEP_2) | instskip(SKIP_2) | instid1(VALU_DEP_3)
	v_dual_cndmask_b32 v8, v20, v14 :: v_dual_cndmask_b32 v9, v19, v13
	v_cmp_ne_u32_e32 vcc_lo, 0, v5
	v_xor_b32_e32 v5, v18, v15
	v_dual_cndmask_b32 v9, v10, v9 :: v_dual_cndmask_b32 v8, v11, v8
	v_xor_b32_e32 v10, v18, v16
	s_delay_alu instid0(VALU_DEP_2) | instskip(NEXT) | instid1(VALU_DEP_2)
	v_xor_b32_e32 v9, v9, v5
	v_xor_b32_e32 v8, v8, v10
	s_delay_alu instid0(VALU_DEP_2) | instskip(NEXT) | instid1(VALU_DEP_2)
	v_sub_co_u32 v48, vcc_lo, v9, v5
	v_sub_co_ci_u32_e32 v49, vcc_lo, v8, v10, vcc_lo
.LBB6_15:
	s_and_not1_saveexec_b32 s0, s1
	s_cbranch_execz .LBB6_17
; %bb.16:
	v_cvt_f32_u32_e32 v5, v36
	v_sub_nc_u32_e32 v8, 0, v36
	v_mov_b32_e32 v49, 0
	s_delay_alu instid0(VALU_DEP_3) | instskip(SKIP_2) | instid1(VALU_DEP_1)
	v_rcp_iflag_f32_e32 v5, v5
	s_waitcnt_depctr 0xfff
	v_mul_f32_e32 v5, 0x4f7ffffe, v5
	v_cvt_u32_f32_e32 v5, v5
	s_delay_alu instid0(VALU_DEP_1) | instskip(NEXT) | instid1(VALU_DEP_1)
	v_mul_lo_u32 v8, v8, v5
	v_mul_hi_u32 v8, v5, v8
	s_delay_alu instid0(VALU_DEP_1) | instskip(NEXT) | instid1(VALU_DEP_1)
	v_add_nc_u32_e32 v5, v5, v8
	v_mul_hi_u32 v5, v28, v5
	s_delay_alu instid0(VALU_DEP_1) | instskip(SKIP_1) | instid1(VALU_DEP_2)
	v_mul_lo_u32 v8, v5, v36
	v_add_nc_u32_e32 v9, 1, v5
	v_sub_nc_u32_e32 v8, v28, v8
	s_delay_alu instid0(VALU_DEP_1) | instskip(SKIP_1) | instid1(VALU_DEP_2)
	v_sub_nc_u32_e32 v10, v8, v36
	v_cmp_ge_u32_e32 vcc_lo, v8, v36
	v_dual_cndmask_b32 v8, v8, v10 :: v_dual_cndmask_b32 v5, v5, v9
	s_delay_alu instid0(VALU_DEP_1) | instskip(NEXT) | instid1(VALU_DEP_2)
	v_cmp_ge_u32_e32 vcc_lo, v8, v36
	v_add_nc_u32_e32 v9, 1, v5
	s_delay_alu instid0(VALU_DEP_1)
	v_cndmask_b32_e32 v48, v5, v9, vcc_lo
.LBB6_17:
	s_or_b32 exec_lo, exec_lo, s0
	v_mul_lo_u32 v5, v6, v4
	s_delay_alu instid0(VALU_DEP_1) | instskip(NEXT) | instid1(VALU_DEP_1)
	v_sub_nc_u32_e32 v5, v35, v5
	v_sub_nc_u32_e32 v8, v5, v4
	v_cmp_ge_u32_e64 s0, v5, v4
	s_delay_alu instid0(VALU_DEP_1) | instskip(NEXT) | instid1(VALU_DEP_1)
	v_cndmask_b32_e64 v5, v5, v8, s0
	v_cmp_ge_u32_e32 vcc_lo, v5, v4
	s_cbranch_execnz .LBB6_706
; %bb.18:
	ds_load_b64 v[4:5], v0
	s_mov_b32 s3, exec_lo
	s_waitcnt lgkmcnt(0)
	v_cmp_ne_u32_e64 s1, -1, v4
	s_delay_alu instid0(VALU_DEP_1) | instskip(SKIP_1) | instid1(VALU_DEP_1)
	v_cndmask_b32_e64 v52, 0, 1, s1
	v_cmp_ne_u32_e64 s1, -1, v5
	v_add_co_ci_u32_e64 v4, s2, 0, v52, s1
	s_delay_alu instid0(VALU_DEP_1) | instskip(NEXT) | instid1(VALU_DEP_1)
	v_lshlrev_b32_e32 v5, 1, v4
	v_cmpx_le_i32_e64 v5, v1
	s_xor_b32 s16, exec_lo, s3
	s_cbranch_execz .LBB6_854
; %bb.19:
	flat_load_b128 v[8:11], v[2:3] offset:16
	s_cbranch_execnz .LBB6_708
; %bb.20:
	s_load_b32 s2, s[8:9], 0x0
	v_mov_b32_e32 v5, 0
	v_mov_b32_e32 v97, 4
	s_waitcnt lgkmcnt(0)
	s_cmp_lt_u32 s12, s2
	s_cselect_b32 s2, 12, 18
	s_delay_alu instid0(SALU_CYCLE_1)
	s_add_u32 s2, s8, s2
	s_addc_u32 s3, s9, 0
	global_load_u16 v37, v5, s[2:3]
	ds_load_b32 v5, v0
	s_mov_b32 s3, exec_lo
	s_waitcnt lgkmcnt(0)
	v_readfirstlane_b32 s5, v5
	v_cmpx_ge_i32_e64 v0, v52
	s_cbranch_execz .LBB6_30
; %bb.21:
	v_cmp_le_u32_e64 s2, v4, v0
                                        ; implicit-def: $vgpr97
	s_delay_alu instid0(VALU_DEP_1) | instskip(NEXT) | instid1(SALU_CYCLE_1)
	s_and_saveexec_b32 s4, s2
	s_xor_b32 s2, exec_lo, s4
	s_cbranch_execz .LBB6_27
; %bb.22:
	v_cndmask_b32_e64 v5, 0, 1, s1
                                        ; implicit-def: $sgpr6
	s_delay_alu instid0(VALU_DEP_1) | instskip(NEXT) | instid1(VALU_DEP_1)
	v_sub_nc_u32_e32 v5, v1, v5
	v_cmp_ge_u32_e64 s1, v0, v5
	s_delay_alu instid0(VALU_DEP_1) | instskip(NEXT) | instid1(SALU_CYCLE_1)
	s_and_saveexec_b32 s4, s1
	s_xor_b32 s1, exec_lo, s4
; %bb.23:
	s_mov_b32 s6, 16
                                        ; implicit-def: $vgpr4
; %bb.24:
	s_or_saveexec_b32 s4, s1
	v_mov_b32_e32 v97, s6
	s_xor_b32 exec_lo, exec_lo, s4
; %bb.25:
	v_sub_nc_u32_e32 v4, v1, v4
	s_delay_alu instid0(VALU_DEP_1) | instskip(NEXT) | instid1(VALU_DEP_1)
	v_cmp_ge_i32_e64 s1, v0, v4
	v_cndmask_b32_e64 v4, 0, 1, s1
	s_delay_alu instid0(VALU_DEP_1)
	v_lshlrev_b32_e32 v97, 5, v4
; %bb.26:
	s_or_b32 exec_lo, exec_lo, s4
.LBB6_27:
	s_and_not1_saveexec_b32 s1, s2
; %bb.28:
	v_mov_b32_e32 v97, 8
; %bb.29:
	s_or_b32 exec_lo, exec_lo, s1
.LBB6_30:
	s_delay_alu instid0(SALU_CYCLE_1) | instskip(NEXT) | instid1(VALU_DEP_1)
	s_or_b32 exec_lo, exec_lo, s3
	v_dual_mov_b32 v29, -1 :: v_dual_and_b32 v4, 36, v97
	s_delay_alu instid0(VALU_DEP_1) | instskip(NEXT) | instid1(VALU_DEP_1)
	v_cmp_ne_u32_e64 s1, 0, v4
	s_and_saveexec_b32 s2, s1
	s_cbranch_execz .LBB6_33
; %bb.31:
	s_cbranch_execnz .LBB6_710
; %bb.32:
	ds_load_b32 v29, v0
.LBB6_33:
	s_or_b32 exec_lo, exec_lo, s2
	v_and_b32_e32 v4, 24, v97
	s_mov_b32 s3, exec_lo
	s_delay_alu instid0(VALU_DEP_1)
	v_cmpx_ne_u32_e32 0, v4
	s_cbranch_execz .LBB6_36
; %bb.34:
	s_cbranch_execnz .LBB6_712
; %bb.35:
	s_waitcnt lgkmcnt(0)
	ds_load_b32 v29, v0
.LBB6_36:
	s_or_b32 exec_lo, exec_lo, s3
	v_mov_b32_e32 v14, 0
	v_mov_b32_e32 v15, 0
	s_delay_alu instid0(VALU_DEP_2) | instskip(NEXT) | instid1(VALU_DEP_2)
	v_mov_b32_e32 v4, v14
                                        ; implicit-def: $vgpr12_vgpr13
                                        ; implicit-def: $vgpr98
                                        ; implicit-def: $vgpr22_vgpr23
                                        ; implicit-def: $vgpr18_vgpr19
                                        ; implicit-def: $vgpr20_vgpr21
                                        ; implicit-def: $vgpr16_vgpr17
	v_mov_b32_e32 v5, v15
	s_and_saveexec_b32 s2, s1
	s_cbranch_execz .LBB6_49
; %bb.37:
	s_cbranch_execnz .LBB6_714
; %bb.38:
	ds_load_b64 v[4:5], v0
	s_waitcnt lgkmcnt(1)
	v_ashrrev_i32_e32 v30, 31, v29
	s_mov_b32 s3, exec_lo
	s_delay_alu instid0(VALU_DEP_1) | instskip(SKIP_1) | instid1(VALU_DEP_1)
	v_lshlrev_b64 v[12:13], 3, v[29:30]
	s_waitcnt lgkmcnt(0)
	v_add_co_u32 v4, s1, v4, v12
	s_delay_alu instid0(VALU_DEP_1)
	v_add_co_ci_u32_e64 v5, s1, v5, v13, s1
                                        ; implicit-def: $vgpr12_vgpr13
	flat_load_b64 v[24:25], v[4:5]
	s_waitcnt vmcnt(0) lgkmcnt(0)
	flat_load_b32 v4, v[24:25] offset:640
	s_waitcnt vmcnt(0) lgkmcnt(0)
	v_cmpx_eq_u32_e32 1, v4
	s_cbranch_execz .LBB6_41
; %bb.39:
	flat_load_b64 v[12:13], v[24:25] offset:648
	s_waitcnt vmcnt(0) lgkmcnt(0)
	flat_load_b64 v[4:5], v[12:13]
	s_cbranch_execnz .LBB6_727
; %bb.40:
	s_waitcnt vmcnt(0) lgkmcnt(0)
	ds_store_b64 v0, v[4:5]
	flat_load_b64 v[4:5], v[12:13] offset:8
	v_or_b32_e32 v97, 0x2000, v97
	s_waitcnt vmcnt(0) lgkmcnt(0)
	ds_store_b64 v0, v[4:5]
	flat_load_b64 v[4:5], v[12:13] offset:16
	s_waitcnt vmcnt(0) lgkmcnt(0)
	ds_store_b64 v0, v[4:5]
.LBB6_41:
	s_or_b32 exec_lo, exec_lo, s3
	flat_load_b64 v[4:5], v[24:25] offset:608
	v_and_b32_e32 v14, 32, v97
	s_mov_b32 s3, exec_lo
                                        ; implicit-def: $vgpr16_vgpr17
	s_waitcnt vmcnt(0) lgkmcnt(0)
	v_add_co_u32 v4, s1, v4, 3
	s_delay_alu instid0(VALU_DEP_1) | instskip(NEXT) | instid1(VALU_DEP_2)
	v_add_co_ci_u32_e64 v19, s1, 0, v5, s1
	v_and_b32_e32 v18, -4, v4
	v_cmpx_ne_u32_e32 0, v14
	s_cbranch_execz .LBB6_43
; %bb.42:
	flat_load_b64 v[16:17], v[24:25] offset:560
	s_waitcnt vmcnt(0) lgkmcnt(0)
	s_waitcnt_vscnt null, 0x0
	flat_store_b64 v[16:17], v[18:19]
.LBB6_43:
	s_or_b32 exec_lo, exec_lo, s3
	v_and_b32_e32 v20, 4, v97
	v_add_co_u32 v14, s1, 0x1f8, v24
	s_delay_alu instid0(VALU_DEP_1) | instskip(SKIP_3) | instid1(VALU_DEP_1)
	v_add_co_ci_u32_e64 v15, s1, 0, v25, s1
	v_mov_b32_e32 v4, 0
	v_mov_b32_e32 v5, 0
	v_cmp_ne_u32_e64 s1, 0, v20
                                        ; implicit-def: $vgpr98
                                        ; implicit-def: $vgpr22_vgpr23
                                        ; implicit-def: $vgpr20_vgpr21
	s_and_saveexec_b32 s3, s1
	s_cbranch_execz .LBB6_48
; %bb.44:
	v_and_b32_e32 v4, 0x800, v97
	s_mov_b32 s4, exec_lo
	s_delay_alu instid0(VALU_DEP_1)
	v_cmpx_eq_u32_e32 0, v4
	s_cbranch_execz .LBB6_47
; %bb.45:
	s_cbranch_execnz .LBB6_729
; %bb.46:
	ds_store_b64 v0, v[14:15]
.LBB6_47:
	s_or_b32 exec_lo, exec_lo, s4
	flat_load_b64 v[16:17], v[24:25] offset:552
	s_waitcnt vmcnt(0) lgkmcnt(0)
	flat_load_b64 v[22:23], v[16:17] glc
	s_clause 0x2
	flat_load_b64 v[4:5], v[24:25] offset:600
	flat_load_b32 v98, v[24:25] offset:576
	flat_load_b64 v[20:21], v[24:25] offset:520
	v_or_b32_e32 v24, 0x100, v97
	s_waitcnt vmcnt(2) lgkmcnt(2)
	v_cmp_eq_u64_e64 s1, 0, v[4:5]
	s_delay_alu instid0(VALU_DEP_1)
	v_cndmask_b32_e64 v97, v24, v97, s1
.LBB6_48:
	s_or_b32 exec_lo, exec_lo, s3
.LBB6_49:
	s_delay_alu instid0(SALU_CYCLE_1) | instskip(SKIP_3) | instid1(VALU_DEP_3)
	s_or_b32 exec_lo, exec_lo, s2
	v_add_nc_u32_e32 v24, 1, v6
	v_cvt_f32_u32_e32 v25, v34
	v_ashrrev_i32_e32 v38, 31, v26
	v_cndmask_b32_e64 v6, v6, v24, s0
	s_delay_alu instid0(VALU_DEP_3) | instskip(SKIP_2) | instid1(VALU_DEP_2)
	v_rcp_iflag_f32_e32 v24, v25
	v_bfe_i32 v25, v34, 30, 1
	s_mov_b32 s0, exec_lo
	v_add_nc_u32_e32 v30, 1, v6
	s_delay_alu instid0(VALU_DEP_2) | instskip(NEXT) | instid1(VALU_DEP_2)
	v_xor_b32_e32 v25, v38, v25
	v_cndmask_b32_e32 v6, v6, v30, vcc_lo
	s_waitcnt_depctr 0xfff
	v_mul_f32_e32 v24, 0x4f7ffffe, v24
	v_sub_nc_u32_e32 v30, 0, v34
	v_xor_b32_e32 v6, v6, v25
	s_delay_alu instid0(VALU_DEP_3) | instskip(NEXT) | instid1(VALU_DEP_2)
	v_cvt_u32_f32_e32 v24, v24
	v_sub_nc_u32_e32 v39, v6, v25
	s_delay_alu instid0(VALU_DEP_2) | instskip(NEXT) | instid1(VALU_DEP_2)
	v_mul_lo_u32 v6, v30, v24
	v_mul_lo_u32 v7, v39, v7
	s_delay_alu instid0(VALU_DEP_2) | instskip(NEXT) | instid1(VALU_DEP_2)
	v_mul_hi_u32 v6, v24, v6
	v_sub_nc_u32_e32 v7, v26, v7
	s_delay_alu instid0(VALU_DEP_2) | instskip(NEXT) | instid1(VALU_DEP_2)
	v_add_nc_u32_e32 v6, v24, v6
	v_sub_nc_u32_e32 v25, 0, v7
	s_delay_alu instid0(VALU_DEP_2) | instskip(NEXT) | instid1(VALU_DEP_2)
	v_mad_u64_u32 v[32:33], null, v35, v6, 0
	v_max_i32_e32 v53, v7, v25
	v_ashrrev_i32_e32 v32, 31, v7
	s_delay_alu instid0(VALU_DEP_2) | instskip(SKIP_1) | instid1(VALU_DEP_1)
	v_mad_u64_u32 v[25:26], null, v53, v6, 0
	v_and_b32_e32 v6, 24, v97
                                        ; implicit-def: $vgpr24_vgpr25
	v_cmpx_ne_u32_e32 0, v6
	s_cbranch_execz .LBB6_59
; %bb.50:
	s_cbranch_execnz .LBB6_721
; %bb.51:
	ds_load_b64 v[4:5], v0
	s_waitcnt lgkmcnt(1)
	v_ashrrev_i32_e32 v30, 31, v29
	v_or_b32_e32 v18, 0x100, v97
	s_mov_b32 s1, exec_lo
                                        ; implicit-def: $vgpr24_vgpr25
	s_delay_alu instid0(VALU_DEP_2) | instskip(SKIP_1) | instid1(VALU_DEP_1)
	v_lshlrev_b64 v[6:7], 3, v[29:30]
	s_waitcnt lgkmcnt(0)
	v_add_co_u32 v4, vcc_lo, v4, v6
	s_delay_alu instid0(VALU_DEP_2)
	v_add_co_ci_u32_e32 v5, vcc_lo, v5, v7, vcc_lo
	flat_load_b64 v[14:15], v[4:5]
	s_waitcnt vmcnt(0) lgkmcnt(0)
	flat_load_b128 v[4:7], v[14:15] offset:96
	s_waitcnt vmcnt(0) lgkmcnt(0)
	v_cmp_eq_u64_e32 vcc_lo, 0, v[4:5]
	v_cndmask_b32_e32 v97, v18, v97, vcc_lo
	s_delay_alu instid0(VALU_DEP_1) | instskip(NEXT) | instid1(VALU_DEP_1)
	v_and_b32_e32 v18, 16, v97
	v_cmpx_ne_u32_e32 0, v18
; %bb.52:
	s_clause 0x2
	flat_load_b64 v[24:25], v[14:15] offset:120
	flat_load_b64 v[16:17], v[14:15] offset:48
	;; [unrolled: 1-line block ×3, first 2 shown]
; %bb.53:
	s_or_b32 exec_lo, exec_lo, s1
	v_and_b32_e32 v18, 8, v97
	s_mov_b32 s1, exec_lo
	s_delay_alu instid0(VALU_DEP_1)
	v_cmpx_ne_u32_e32 0, v18
	s_cbranch_execz .LBB6_58
; %bb.54:
	s_waitcnt vmcnt(1) lgkmcnt(1)
	v_and_b32_e32 v16, 0x800, v97
	s_mov_b32 s2, exec_lo
	s_delay_alu instid0(VALU_DEP_1)
	v_cmpx_eq_u32_e32 0, v16
	s_cbranch_execz .LBB6_57
; %bb.55:
	s_cbranch_execnz .LBB6_731
; %bb.56:
	ds_store_b64 v0, v[14:15]
.LBB6_57:
	s_or_b32 exec_lo, exec_lo, s2
	flat_load_b64 v[16:17], v[14:15] offset:56
	s_waitcnt vmcnt(0) lgkmcnt(0)
	flat_load_b64 v[22:23], v[16:17] glc
	s_clause 0x1
	flat_load_b32 v98, v[14:15] offset:72
	flat_load_b64 v[20:21], v[14:15] offset:16
.LBB6_58:
	s_or_b32 exec_lo, exec_lo, s1
	v_add_co_u32 v6, vcc_lo, v6, 3
	v_add_co_ci_u32_e32 v19, vcc_lo, 0, v7, vcc_lo
	s_delay_alu instid0(VALU_DEP_2)
	v_and_b32_e32 v18, -4, v6
.LBB6_59:
	s_or_b32 exec_lo, exec_lo, s0
	v_cmp_eq_u32_e64 s0, 0, v0
	s_delay_alu instid0(VALU_DEP_1)
	s_and_saveexec_b32 s1, s0
	s_cbranch_execz .LBB6_62
; %bb.60:
	s_waitcnt vmcnt(1)
	v_dual_mov_b32 v6, v10 :: v_dual_mov_b32 v7, v11
	ds_store_2addr_b64 v0, v[6:7], v[8:9] offset1:1
	s_cbranch_execnz .LBB6_723
; %bb.61:
	v_mov_b32_e32 v6, 0
	s_delay_alu instid0(VALU_DEP_1)
	v_mov_b32_e32 v7, v6
	ds_store_b64 v0, v[6:7]
.LBB6_62:
	s_or_b32 exec_lo, exec_lo, s1
	s_waitcnt vmcnt(1)
	v_mov_b32_e32 v10, 0
	s_waitcnt vmcnt(0)
	v_dual_mov_b32 v11, 0 :: v_dual_and_b32 v30, 0xffff, v37
	s_cmp_lt_i32 s13, -1
	s_cbranch_scc1 .LBB6_716
; %bb.63:
	v_mul_lo_u32 v6, v33, v34
	v_mul_lo_u32 v7, v26, v34
	v_ashrrev_i32_e32 v9, 31, v0
	s_mov_b32 s15, 0
	s_delay_alu instid0(VALU_DEP_1) | instskip(NEXT) | instid1(VALU_DEP_4)
	v_lshrrev_b32_e32 v9, 27, v9
	v_sub_nc_u32_e32 v6, v35, v6
	s_delay_alu instid0(VALU_DEP_4) | instskip(SKIP_1) | instid1(VALU_DEP_4)
	v_sub_nc_u32_e32 v7, v53, v7
	v_mad_u64_u32 v[53:54], null, v48, v36, 0
	v_add_nc_u32_e32 v9, v0, v9
	s_delay_alu instid0(VALU_DEP_4) | instskip(SKIP_2) | instid1(VALU_DEP_3)
	v_sub_nc_u32_e32 v8, v6, v34
	v_cmp_ge_u32_e32 vcc_lo, v6, v34
	v_sub_nc_u32_e32 v10, v7, v34
	v_cndmask_b32_e32 v6, v6, v8, vcc_lo
	v_cmp_ge_u32_e32 vcc_lo, v7, v34
	v_add_nc_u32_e32 v8, 1, v26
	s_delay_alu instid0(VALU_DEP_4) | instskip(NEXT) | instid1(VALU_DEP_4)
	v_cndmask_b32_e32 v7, v7, v10, vcc_lo
	v_sub_nc_u32_e32 v11, v6, v34
	v_cmp_ge_u32_e64 s1, v6, v34
	s_delay_alu instid0(VALU_DEP_4) | instskip(SKIP_2) | instid1(VALU_DEP_4)
	v_cndmask_b32_e32 v8, v26, v8, vcc_lo
	v_mov_b32_e32 v26, 0
	v_cmp_ge_u32_e32 vcc_lo, v7, v34
	v_cndmask_b32_e64 v6, v6, v11, s1
	s_delay_alu instid0(VALU_DEP_4) | instskip(NEXT) | instid1(VALU_DEP_2)
	v_add_nc_u32_e32 v10, 1, v8
	v_xor_b32_e32 v6, v6, v38
	s_delay_alu instid0(VALU_DEP_2) | instskip(SKIP_1) | instid1(VALU_DEP_3)
	v_dual_cndmask_b32 v7, v8, v10 :: v_dual_and_b32 v10, 0xffffffe0, v9
	v_cmp_ge_i32_e32 vcc_lo, v0, v1
	v_sub_nc_u32_e32 v8, v6, v38
	s_delay_alu instid0(VALU_DEP_3) | instskip(NEXT) | instid1(VALU_DEP_4)
	v_xor_b32_e32 v11, v7, v32
	v_sub_nc_u32_e32 v99, v0, v10
	s_delay_alu instid0(VALU_DEP_3) | instskip(NEXT) | instid1(VALU_DEP_3)
	v_mad_u64_u32 v[6:7], null, v39, v34, v[8:9]
	v_sub_nc_u32_e32 v10, v11, v32
	v_sub_co_u32 v8, null, v28, v53
	v_and_b32_e32 v7, 31, v31
	v_cmp_gt_i32_e64 s1, 1, v99
	s_delay_alu instid0(VALU_DEP_4) | instskip(NEXT) | instid1(VALU_DEP_4)
	v_cmp_eq_u32_e64 s11, 0, v10
	v_cmp_lt_i32_e64 s3, v6, v8
	s_delay_alu instid0(VALU_DEP_4)
	v_cmp_eq_u32_e64 s2, 0, v7
	s_cbranch_execnz .LBB6_725
; %bb.64:
	s_delay_alu instid0(VALU_DEP_2)
	v_cndmask_b32_e64 v7, 0, 1, s3
	v_min_i32_e32 v32, v6, v8
	s_abs_i32 s18, s13
	v_lshrrev_b32_e32 v100, 5, v1
	v_cvt_f32_u32_e32 v66, s18
	v_add_co_u32 v11, s3, v48, v7
	s_delay_alu instid0(VALU_DEP_1) | instskip(SKIP_1) | instid1(VALU_DEP_3)
	v_add_co_ci_u32_e64 v28, s3, 0, v49, s3
	v_ashrrev_i32_e32 v7, 31, v6
	v_mul_lo_u32 v37, v11, v51
	v_ashrrev_i32_e32 v33, 31, v32
	s_delay_alu instid0(VALU_DEP_4)
	v_mul_lo_u32 v36, v28, v50
	s_waitcnt lgkmcnt(0)
	v_mad_u64_u32 v[28:29], null, v11, v50, 0
	v_ashrrev_i32_e32 v11, 31, v10
	v_mul_lo_u32 v49, v49, v6
	v_mul_lo_u32 v55, v48, v7
	v_mad_u64_u32 v[34:35], null, v48, v6, v[32:33]
	s_lshr_b32 s3, s13, 31
	v_add3_u32 v29, v29, v37, v36
	v_mul_lo_u32 v11, v28, v11
	v_mad_u64_u32 v[36:37], null, v28, v10, 0
	s_add_i32 s4, s13, s3
	s_delay_alu instid0(VALU_DEP_3) | instskip(SKIP_4) | instid1(VALU_DEP_4)
	v_mul_lo_u32 v10, v29, v10
	v_add3_u32 v35, v49, v35, v55
	v_mul_lo_u32 v38, v34, v51
	v_mad_u64_u32 v[32:33], null, v34, v50, 0
	v_and_b32_e32 v34, 0x3ffffe00, v27
	v_mul_lo_u32 v39, v35, v50
	v_mov_b32_e32 v35, v26
	v_add3_u32 v11, v37, v11, v10
	v_lshrrev_b32_e32 v27, 31, v29
	v_rcp_iflag_f32_e32 v66, v66
	v_lshlrev_b32_e32 v102, 9, v100
	v_lshl_add_u32 v65, v100, 10, 0xfffffc00
	v_lshrrev_b32_e32 v10, 31, v11
	v_add3_u32 v33, v33, v38, v39
	s_ashr_i32 s17, s4, 1
	v_dual_mov_b32 v131, 1 :: v_dual_and_b32 v118, 0xffffffe0, v1
	s_delay_alu instid0(VALU_DEP_3) | instskip(NEXT) | instid1(VALU_DEP_1)
	v_add_co_u32 v10, s3, v36, v10
	v_add_co_ci_u32_e64 v11, s3, 0, v11, s3
	v_add_co_u32 v37, s3, v28, v27
	s_delay_alu instid0(VALU_DEP_1) | instskip(SKIP_3) | instid1(VALU_DEP_4)
	v_add_co_ci_u32_e64 v38, s3, 0, v29, s3
	v_ashrrev_i32_e32 v36, 5, v9
	v_lshlrev_b32_e32 v9, 4, v99
	v_add_co_u32 v116, s4, 0x400, v65
	v_ashrrev_i64 v[53:54], 1, v[37:38]
	v_ashrrev_i64 v[38:39], 1, v[10:11]
	s_delay_alu instid0(VALU_DEP_4) | instskip(SKIP_4) | instid1(VALU_DEP_3)
	v_lshl_add_u32 v101, v36, 12, v9
	v_lshl_add_u32 v9, v100, 12, 0xfffff000
	v_add_nc_u32_e32 v11, 0xfffffe00, v102
	s_sub_i32 s14, 0, s18
	v_sub_co_u32 v27, s3, v28, v53
	v_ashrrev_i32_e32 v10, 31, v9
	v_sub_co_ci_u32_e64 v64, s3, v29, v54, s3
	v_add_co_u32 v112, s3, 0x1000, v9
	s_delay_alu instid0(VALU_DEP_1) | instskip(SKIP_4) | instid1(VALU_DEP_4)
	v_add_co_ci_u32_e64 v113, s3, 0, v10, s3
	v_ashrrev_i32_e32 v10, 31, v11
	v_ashrrev_i32_e32 v9, 31, v8
	v_add_co_u32 v114, s3, 0x200, v11
	v_cmp_eq_u64_e64 s7, 0, v[24:25]
	v_add_co_ci_u32_e64 v115, s3, 0, v10, s3
	s_delay_alu instid0(VALU_DEP_4)
	v_cmp_lt_i64_e64 s3, v[6:7], v[8:9]
	v_ashrrev_i32_e32 v10, 31, v65
	v_cmp_ne_u64_e64 s10, 0, v[24:25]
	v_ashrrev_i32_e32 v37, 31, v36
	v_ashrrev_i32_e32 v103, 31, v101
	;; [unrolled: 1-line block ×3, first 2 shown]
	v_cndmask_b32_e64 v9, v9, v7, s3
	v_cndmask_b32_e64 v8, v8, v6, s3
	v_add_co_ci_u32_e64 v117, s4, 0, v10, s4
	s_ashr_i32 s4, s5, 31
	v_ashrrev_i32_e32 v128, 31, v98
	s_delay_alu instid0(VALU_DEP_3)
	v_mad_u64_u32 v[10:11], null, v48, v6, v[8:9]
	v_mul_f32_e32 v6, 0x4f7ffffe, v66
	s_lshr_b32 s3, s4, 25
	v_cmp_ne_u32_e64 s4, 32, v1
	s_add_i32 s5, s5, s3
	v_cmp_eq_u32_e64 s3, 32, v1
	v_cvt_u32_f32_e32 v6, v6
	v_add3_u32 v7, v49, v11, v55
	v_mad_u64_u32 v[48:49], null, v10, v50, 0
	s_ashr_i32 s19, s5, 7
	s_delay_alu instid0(VALU_DEP_3)
	v_readfirstlane_b32 s12, v6
	v_mul_lo_u32 v6, v10, v51
	v_mul_lo_u32 v7, v7, v50
	v_mov_b32_e32 v10, 0
	v_cmp_ne_u32_e64 s5, v30, v1
	s_mul_i32 s14, s14, s12
	v_cmp_lt_i32_e64 s6, v99, v52
	v_cndmask_b32_e64 v129, v64, v54, s11
	v_cndmask_b32_e64 v130, v27, v53, s11
	v_mov_b32_e32 v11, 0
	v_add3_u32 v49, v49, v6, v7
	s_mul_hi_u32 s11, s12, s14
	s_xor_b32 s21, vcc_lo, -1
	s_add_i32 s20, s12, s11
	s_mov_b32 s14, s15
	s_cbranch_execnz .LBB6_702
.LBB6_65:                               ; =>This Loop Header: Depth=1
                                        ;     Child Loop BB6_73 Depth 2
                                        ;     Child Loop BB6_80 Depth 2
	;; [unrolled: 1-line block ×5, first 2 shown]
                                        ;       Child Loop BB6_103 Depth 3
                                        ;         Child Loop BB6_112 Depth 4
                                        ;         Child Loop BB6_139 Depth 4
	;; [unrolled: 1-line block ×8, first 2 shown]
                                        ;       Child Loop BB6_242 Depth 3
                                        ;         Child Loop BB6_248 Depth 4
                                        ;         Child Loop BB6_275 Depth 4
                                        ;       Child Loop BB6_299 Depth 3
                                        ;         Child Loop BB6_301 Depth 4
                                        ;           Child Loop BB6_309 Depth 5
                                        ;           Child Loop BB6_341 Depth 5
	;; [unrolled: 1-line block ×8, first 2 shown]
                                        ;         Child Loop BB6_444 Depth 4
                                        ;           Child Loop BB6_450 Depth 5
                                        ;           Child Loop BB6_482 Depth 5
                                        ;       Child Loop BB6_507 Depth 3
                                        ;         Child Loop BB6_516 Depth 4
                                        ;         Child Loop BB6_543 Depth 4
	;; [unrolled: 1-line block ×8, first 2 shown]
                                        ;       Child Loop BB6_644 Depth 3
                                        ;         Child Loop BB6_650 Depth 4
                                        ;         Child Loop BB6_677 Depth 4
	s_sub_i32 s11, s13, s14
	ds_load_b64 v[6:7], v0
	s_abs_i32 s12, s11
	s_ashr_i32 s11, s11, 31
	s_mul_hi_u32 s22, s12, s20
	s_delay_alu instid0(SALU_CYCLE_1) | instskip(NEXT) | instid1(SALU_CYCLE_1)
	s_mul_i32 s22, s22, s18
	s_sub_i32 s12, s12, s22
	s_delay_alu instid0(SALU_CYCLE_1) | instskip(SKIP_2) | instid1(SALU_CYCLE_1)
	s_sub_i32 s22, s12, s18
	s_cmp_ge_u32 s12, s18
	s_cselect_b32 s12, s22, s12
	s_sub_i32 s22, s12, s18
	s_cmp_ge_u32 s12, s18
	s_cselect_b32 s12, s22, s12
	s_lshl_b64 s[24:25], s[14:15], 2
	s_xor_b32 s12, s12, s11
	s_waitcnt lgkmcnt(0)
	v_add_co_u32 v8, vcc_lo, v6, s24
	s_sub_i32 s22, s12, s11
	v_add_co_ci_u32_e32 v9, vcc_lo, s25, v7, vcc_lo
	s_ashr_i32 s23, s22, 31
	s_delay_alu instid0(SALU_CYCLE_1)
	s_lshl_b64 s[22:23], s[22:23], 2
	s_cmp_lg_u32 s14, 0
	v_add_co_u32 v6, vcc_lo, v6, s22
	v_add_co_ci_u32_e32 v7, vcc_lo, s23, v7, vcc_lo
	s_clause 0x1
	flat_load_b32 v8, v[8:9]
	flat_load_b32 v6, v[6:7]
	s_cselect_b32 s11, -1, 0
	s_waitcnt vmcnt(1) lgkmcnt(1)
	v_ashrrev_i32_e32 v7, 31, v8
	s_waitcnt vmcnt(0) lgkmcnt(0)
	v_ashrrev_i32_e32 v27, 31, v6
	v_mul_lo_u32 v9, v96, v8
	v_mad_u64_u32 v[54:55], null, v87, v8, 0
	v_mul_lo_u32 v7, v87, v7
	v_mul_lo_u32 v64, v96, v6
	v_mad_u64_u32 v[52:53], null, v87, v6, 0
	v_cmp_eq_u32_e32 vcc_lo, v6, v8
	v_mul_lo_u32 v6, v87, v27
	v_add3_u32 v55, v55, v7, v9
	v_dual_cndmask_b32 v27, 0, v39 :: v_dual_cndmask_b32 v144, 0, v38
	v_dual_cndmask_b32 v51, v29, v129 :: v_dual_cndmask_b32 v50, v28, v130
	s_delay_alu instid0(VALU_DEP_4) | instskip(SKIP_3) | instid1(VALU_DEP_4)
	v_add3_u32 v53, v53, v6, v64
	v_add_co_u32 v6, vcc_lo, v54, v32
	v_add_co_ci_u32_e32 v7, vcc_lo, v55, v33, vcc_lo
	v_add_co_u32 v8, vcc_lo, v52, v32
	v_add_co_ci_u32_e32 v9, vcc_lo, v53, v33, vcc_lo
	s_delay_alu instid0(VALU_DEP_4) | instskip(NEXT) | instid1(VALU_DEP_4)
	v_add_co_u32 v132, vcc_lo, v6, v144
	v_add_co_ci_u32_e32 v133, vcc_lo, v7, v27, vcc_lo
	s_delay_alu instid0(VALU_DEP_4) | instskip(NEXT) | instid1(VALU_DEP_4)
	v_add_co_u32 v134, vcc_lo, v8, v144
	v_add_co_ci_u32_e32 v135, vcc_lo, v9, v27, vcc_lo
	s_and_b32 vcc_lo, exec_lo, s11
	s_cbranch_vccnz .LBB6_98
; %bb.66:                               ;   in Loop: Header=BB6_65 Depth=1
	flat_load_b128 v[6:9], v[2:3] offset:16
	s_mov_b32 s11, -1
	s_mov_b32 s12, exec_lo
	s_waitcnt vmcnt(0) lgkmcnt(0)
	v_cmpx_ne_u64_e64 v[8:9], v[6:7]
	s_cbranch_execz .LBB6_97
; %bb.67:                               ;   in Loop: Header=BB6_65 Depth=1
	s_mov_b32 s23, -1
	s_and_saveexec_b32 s22, s1
; %bb.68:                               ;   in Loop: Header=BB6_65 Depth=1
	v_add_nc_u32_e32 v64, v8, v132
	v_add_nc_u32_e32 v65, v6, v134
	s_delay_alu instid0(VALU_DEP_1) | instskip(NEXT) | instid1(VALU_DEP_1)
	v_or_b32_e32 v64, v64, v65
	v_and_b32_e32 v64, 15, v64
	s_delay_alu instid0(VALU_DEP_1)
	v_cmp_eq_u32_e32 vcc_lo, 0, v64
	s_or_not1_b32 s23, vcc_lo, exec_lo
; %bb.69:                               ;   in Loop: Header=BB6_65 Depth=1
	s_or_b32 exec_lo, exec_lo, s22
	s_xor_b32 s22, s23, -1
	s_delay_alu instid0(SALU_CYCLE_1) | instskip(SKIP_1) | instid1(VALU_DEP_1)
	v_cndmask_b32_e64 v64, 0, 1, s22
	;;#ASMSTART
	;;#ASMEND
	v_cmp_ne_u32_e32 vcc_lo, 0, v64
	s_cbranch_vccz .LBB6_71
; %bb.70:                               ;   in Loop: Header=BB6_65 Depth=1
	v_dual_mov_b32 v66, 0 :: v_dual_mov_b32 v65, v51
	v_dual_mov_b32 v145, v0 :: v_dual_mov_b32 v86, v37
	v_dual_mov_b32 v67, 0 :: v_dual_mov_b32 v64, v50
	v_mov_b32_e32 v80, v36
	v_mov_b32_e32 v85, v36
	s_branch .LBB6_86
.LBB6_71:                               ;   in Loop: Header=BB6_65 Depth=1
	v_ashrrev_i32_e32 v64, 31, v51
	s_mov_b32 s11, exec_lo
	s_delay_alu instid0(VALU_DEP_1) | instskip(NEXT) | instid1(VALU_DEP_1)
	v_lshrrev_b32_e32 v64, 20, v64
	v_add_co_u32 v64, vcc_lo, v50, v64
	v_add_co_ci_u32_e32 v65, vcc_lo, 0, v51, vcc_lo
	s_delay_alu instid0(VALU_DEP_1) | instskip(NEXT) | instid1(VALU_DEP_1)
	v_ashrrev_i64 v[64:65], 12, v[64:65]
	v_sub_co_u32 v68, vcc_lo, v64, v36
	s_delay_alu instid0(VALU_DEP_2) | instskip(NEXT) | instid1(VALU_DEP_1)
	v_sub_co_ci_u32_e32 v69, vcc_lo, v65, v37, vcc_lo
	v_cmpx_lt_i64_e32 0, v[68:69]
	s_cbranch_execz .LBB6_75
; %bb.72:                               ;   in Loop: Header=BB6_65 Depth=1
	v_add_co_u32 v66, vcc_lo, v48, v144
	v_add_co_ci_u32_e32 v67, vcc_lo, v49, v27, vcc_lo
	s_mov_b32 s22, 0
	s_delay_alu instid0(VALU_DEP_2) | instskip(NEXT) | instid1(VALU_DEP_2)
	v_add_co_u32 v70, vcc_lo, v66, v8
	v_add_co_ci_u32_e32 v71, vcc_lo, v67, v9, vcc_lo
	v_add_co_u32 v80, vcc_lo, v66, v6
	v_add_co_ci_u32_e32 v81, vcc_lo, v67, v7, vcc_lo
	s_delay_alu instid0(VALU_DEP_4) | instskip(NEXT) | instid1(VALU_DEP_4)
	v_add_co_u32 v66, vcc_lo, v70, v54
	v_add_co_ci_u32_e32 v67, vcc_lo, v71, v55, vcc_lo
	s_delay_alu instid0(VALU_DEP_4) | instskip(NEXT) | instid1(VALU_DEP_4)
	v_add_co_u32 v70, vcc_lo, v80, v52
	v_add_co_ci_u32_e32 v71, vcc_lo, v81, v53, vcc_lo
.LBB6_73:                               ;   Parent Loop BB6_65 Depth=1
                                        ; =>  This Inner Loop Header: Depth=2
	s_delay_alu instid0(VALU_DEP_4) | instskip(NEXT) | instid1(VALU_DEP_4)
	v_add_co_u32 v84, vcc_lo, v101, v66
	v_add_co_ci_u32_e32 v85, vcc_lo, v103, v67, vcc_lo
	s_clause 0x7
	global_load_b128 v[80:83], v[84:85], off slc dlc
	global_load_b128 v[145:148], v[84:85], off offset:512 slc dlc
	global_load_b128 v[160:163], v[84:85], off offset:1024 slc dlc
	;; [unrolled: 1-line block ×7, first 2 shown]
	v_add_co_u32 v84, vcc_lo, v101, v70
	v_add_co_ci_u32_e32 v85, vcc_lo, v103, v71, vcc_lo
	v_sub_co_u32 v68, vcc_lo, v68, v100
	v_subrev_co_ci_u32_e32 v69, vcc_lo, 0, v69, vcc_lo
	v_add_co_u32 v66, vcc_lo, v66, v112
	v_add_co_ci_u32_e32 v67, vcc_lo, v67, v113, vcc_lo
	v_add_co_u32 v70, vcc_lo, v70, v112
	v_add_co_ci_u32_e32 v71, vcc_lo, v71, v113, vcc_lo
	v_cmp_gt_i64_e32 vcc_lo, 1, v[68:69]
	s_waitcnt vmcnt(7)
	global_store_b128 v[84:85], v[80:83], off glc slc dlc
	s_waitcnt vmcnt(6)
	global_store_b128 v[84:85], v[145:148], off offset:512 glc slc dlc
	s_waitcnt vmcnt(5)
	global_store_b128 v[84:85], v[160:163], off offset:1024 glc slc dlc
	;; [unrolled: 2-line block ×7, first 2 shown]
	s_or_b32 s22, vcc_lo, s22
	s_delay_alu instid0(SALU_CYCLE_1)
	s_and_not1_b32 exec_lo, exec_lo, s22
	s_cbranch_execnz .LBB6_73
; %bb.74:                               ;   in Loop: Header=BB6_65 Depth=1
	s_or_b32 exec_lo, exec_lo, s22
.LBB6_75:                               ;   in Loop: Header=BB6_65 Depth=1
	s_delay_alu instid0(SALU_CYCLE_1)
	s_or_b32 exec_lo, exec_lo, s11
	v_lshlrev_b64 v[81:82], 12, v[64:65]
	v_mov_b32_e32 v66, 0
	v_mov_b32_e32 v67, 0
	s_mov_b32 s11, 0
	s_mov_b32 s22, exec_lo
                                        ; implicit-def: $vgpr64_vgpr65
                                        ; implicit-def: $vgpr145
                                        ; implicit-def: $vgpr80
                                        ; implicit-def: $vgpr85_vgpr86
	s_delay_alu instid0(VALU_DEP_3)
	v_cmpx_ne_u64_e64 v[50:51], v[81:82]
	s_cbranch_execz .LBB6_85
; %bb.76:                               ;   in Loop: Header=BB6_65 Depth=1
	v_sub_co_u32 v66, vcc_lo, v50, v81
	v_sub_co_ci_u32_e32 v67, vcc_lo, v51, v82, vcc_lo
	s_delay_alu instid0(VALU_DEP_1) | instskip(NEXT) | instid1(VALU_DEP_1)
	v_ashrrev_i32_e32 v64, 31, v67
	v_lshrrev_b32_e32 v64, 23, v64
	s_delay_alu instid0(VALU_DEP_1) | instskip(SKIP_1) | instid1(VALU_DEP_2)
	v_add_co_u32 v69, vcc_lo, v66, v64
	v_add_co_ci_u32_e32 v70, vcc_lo, 0, v67, vcc_lo
	v_and_b32_e32 v71, 0xfffffe00, v69
	s_delay_alu instid0(VALU_DEP_2) | instskip(NEXT) | instid1(VALU_DEP_2)
	v_ashrrev_i64 v[83:84], 9, v[69:70]
	v_sub_co_u32 v64, vcc_lo, v66, v71
	v_add_co_u32 v69, s11, v71, v81
	v_sub_co_ci_u32_e32 v65, vcc_lo, v67, v70, vcc_lo
	v_add_co_ci_u32_e64 v70, s11, v70, v82, s11
	s_mov_b32 s11, exec_lo
	s_delay_alu instid0(VALU_DEP_2)
	v_cmpx_lt_i64_e32 15, v[64:65]
; %bb.77:                               ;   in Loop: Header=BB6_65 Depth=1
	v_dual_mov_b32 v86, v26 :: v_dual_and_b32 v85, 15, v50
	v_add_co_u32 v83, vcc_lo, v83, 1
	v_add_co_ci_u32_e32 v84, vcc_lo, 0, v84, vcc_lo
	s_delay_alu instid0(VALU_DEP_3) | instskip(SKIP_1) | instid1(VALU_DEP_2)
	v_sub_co_u32 v64, vcc_lo, v64, v85
	v_subrev_co_ci_u32_e32 v65, vcc_lo, 0, v65, vcc_lo
	v_add_co_u32 v69, vcc_lo, v64, v69
	s_delay_alu instid0(VALU_DEP_2)
	v_add_co_ci_u32_e32 v70, vcc_lo, v65, v70, vcc_lo
	v_dual_mov_b32 v64, v85 :: v_dual_mov_b32 v65, v86
; %bb.78:                               ;   in Loop: Header=BB6_65 Depth=1
	s_or_b32 exec_lo, exec_lo, s11
	v_lshlrev_b32_e32 v68, 5, v68
	s_mov_b32 s23, exec_lo
	s_delay_alu instid0(VALU_DEP_1) | instskip(NEXT) | instid1(VALU_DEP_1)
	v_sub_nc_u32_e32 v68, v99, v68
	v_ashrrev_i32_e32 v71, 31, v68
	s_delay_alu instid0(VALU_DEP_1) | instskip(NEXT) | instid1(VALU_DEP_1)
	v_lshrrev_b32_e32 v71, 27, v71
	v_add_nc_u32_e32 v71, v68, v71
	s_delay_alu instid0(VALU_DEP_1) | instskip(SKIP_1) | instid1(VALU_DEP_2)
	v_and_b32_e32 v80, 0xffffffe0, v71
	v_ashrrev_i32_e32 v71, 5, v71
	v_sub_nc_u32_e32 v68, v68, v80
	s_delay_alu instid0(VALU_DEP_2) | instskip(NEXT) | instid1(VALU_DEP_2)
	v_sub_co_u32 v83, s11, v83, v71
	v_lshlrev_b32_e32 v80, 4, v68
	s_delay_alu instid0(VALU_DEP_1) | instskip(SKIP_1) | instid1(VALU_DEP_2)
	v_lshl_add_u32 v85, v71, 9, v80
	v_ashrrev_i32_e32 v80, 31, v71
	v_ashrrev_i32_e32 v86, 31, v85
	v_sub_co_u32 v66, vcc_lo, v66, v85
	s_delay_alu instid0(VALU_DEP_3) | instskip(NEXT) | instid1(VALU_DEP_3)
	v_sub_co_ci_u32_e64 v84, s11, v84, v80, s11
	v_sub_co_ci_u32_e32 v67, vcc_lo, v67, v86, vcc_lo
	s_delay_alu instid0(VALU_DEP_1)
	v_cmpx_lt_i64_e32 15, v[66:67]
	s_cbranch_execz .LBB6_82
; %bb.79:                               ;   in Loop: Header=BB6_65 Depth=1
	v_add_co_u32 v71, vcc_lo, v32, v144
	v_add_co_ci_u32_e32 v80, vcc_lo, v33, v27, vcc_lo
	s_mov_b32 s24, 0
	s_delay_alu instid0(VALU_DEP_2) | instskip(NEXT) | instid1(VALU_DEP_2)
	v_add_co_u32 v81, vcc_lo, v71, v81
	v_add_co_ci_u32_e32 v82, vcc_lo, v80, v82, vcc_lo
	v_add_co_u32 v71, vcc_lo, v8, v54
	v_add_co_ci_u32_e32 v80, vcc_lo, v9, v55, vcc_lo
	s_delay_alu instid0(VALU_DEP_4) | instskip(NEXT) | instid1(VALU_DEP_4)
	v_add_co_u32 v81, vcc_lo, v81, v85
	v_add_co_ci_u32_e32 v82, vcc_lo, v82, v86, vcc_lo
	v_add_co_u32 v85, vcc_lo, v6, v52
	v_add_co_ci_u32_e32 v86, vcc_lo, v7, v53, vcc_lo
.LBB6_80:                               ;   Parent Loop BB6_65 Depth=1
                                        ; =>  This Inner Loop Header: Depth=2
	s_delay_alu instid0(VALU_DEP_4) | instskip(NEXT) | instid1(VALU_DEP_4)
	v_add_co_u32 v145, vcc_lo, v71, v81
	v_add_co_ci_u32_e32 v146, vcc_lo, v80, v82, vcc_lo
	s_delay_alu instid0(VALU_DEP_4) | instskip(NEXT) | instid1(VALU_DEP_4)
	v_add_co_u32 v149, vcc_lo, v85, v81
	v_add_co_ci_u32_e32 v150, vcc_lo, v86, v82, vcc_lo
	global_load_b128 v[145:148], v[145:146], off slc dlc
	v_sub_co_u32 v66, vcc_lo, v66, v102
	v_subrev_co_ci_u32_e32 v67, vcc_lo, 0, v67, vcc_lo
	v_sub_co_u32 v83, vcc_lo, v83, v100
	v_subrev_co_ci_u32_e32 v84, vcc_lo, 0, v84, vcc_lo
	s_delay_alu instid0(VALU_DEP_3) | instskip(SKIP_1) | instid1(VALU_DEP_1)
	v_cmp_gt_i64_e32 vcc_lo, 16, v[66:67]
	v_add_co_u32 v81, s11, v81, v114
	v_add_co_ci_u32_e64 v82, s11, v82, v115, s11
	s_or_b32 s24, vcc_lo, s24
	s_waitcnt vmcnt(0)
	global_store_b128 v[149:150], v[145:148], off glc slc dlc
	s_and_not1_b32 exec_lo, exec_lo, s24
	s_cbranch_execnz .LBB6_80
; %bb.81:                               ;   in Loop: Header=BB6_65 Depth=1
	s_or_b32 exec_lo, exec_lo, s24
.LBB6_82:                               ;   in Loop: Header=BB6_65 Depth=1
	s_delay_alu instid0(SALU_CYCLE_1)
	s_or_b32 exec_lo, exec_lo, s23
	v_mov_b32_e32 v66, 0
	v_mov_b32_e32 v67, 0
	s_mov_b32 s11, 0
	s_mov_b32 s23, exec_lo
                                        ; implicit-def: $vgpr145
                                        ; implicit-def: $vgpr80
                                        ; implicit-def: $vgpr85_vgpr86
	v_cmpx_ne_u64_e32 0, v[64:65]
	s_cbranch_execz .LBB6_84
; %bb.83:                               ;   in Loop: Header=BB6_65 Depth=1
	v_cmp_lt_i64_e32 vcc_lo, 0, v[83:84]
	s_mov_b32 s11, exec_lo
	v_cndmask_b32_e32 v66, 0, v100, vcc_lo
	s_delay_alu instid0(VALU_DEP_1) | instskip(NEXT) | instid1(VALU_DEP_1)
	v_sub_nc_u32_e32 v66, v66, v83
	v_lshl_add_u32 v145, v66, 5, v68
	s_delay_alu instid0(VALU_DEP_1) | instskip(NEXT) | instid1(VALU_DEP_1)
	v_ashrrev_i32_e32 v66, 31, v145
	v_lshrrev_b32_e32 v66, 27, v66
	s_delay_alu instid0(VALU_DEP_1) | instskip(NEXT) | instid1(VALU_DEP_1)
	v_add_nc_u32_e32 v66, v145, v66
	v_ashrrev_i32_e32 v80, 5, v66
	v_dual_mov_b32 v66, v69 :: v_dual_mov_b32 v67, v70
	s_delay_alu instid0(VALU_DEP_2) | instskip(NEXT) | instid1(VALU_DEP_1)
	v_ashrrev_i32_e32 v81, 31, v80
	v_dual_mov_b32 v86, v81 :: v_dual_mov_b32 v85, v80
.LBB6_84:                               ;   in Loop: Header=BB6_65 Depth=1
	s_or_b32 exec_lo, exec_lo, s23
	s_delay_alu instid0(SALU_CYCLE_1)
	s_and_b32 s11, s11, exec_lo
.LBB6_85:                               ;   in Loop: Header=BB6_65 Depth=1
	s_or_b32 exec_lo, exec_lo, s22
.LBB6_86:                               ;   in Loop: Header=BB6_65 Depth=1
	s_and_saveexec_b32 s22, s11
	s_cbranch_execz .LBB6_96
; %bb.87:                               ;   in Loop: Header=BB6_65 Depth=1
	v_ashrrev_i32_e32 v68, 31, v65
	s_mov_b32 s11, exec_lo
	s_delay_alu instid0(VALU_DEP_1) | instskip(NEXT) | instid1(VALU_DEP_1)
	v_lshrrev_b32_e32 v68, 22, v68
	v_add_co_u32 v68, vcc_lo, v64, v68
	v_add_co_ci_u32_e32 v69, vcc_lo, 0, v65, vcc_lo
	s_delay_alu instid0(VALU_DEP_1) | instskip(NEXT) | instid1(VALU_DEP_1)
	v_ashrrev_i64 v[70:71], 10, v[68:69]
	v_sub_co_u32 v68, vcc_lo, v70, v85
	s_delay_alu instid0(VALU_DEP_2) | instskip(NEXT) | instid1(VALU_DEP_1)
	v_sub_co_ci_u32_e32 v69, vcc_lo, v71, v86, vcc_lo
	v_cmpx_lt_i64_e32 0, v[68:69]
	s_cbranch_execz .LBB6_91
; %bb.88:                               ;   in Loop: Header=BB6_65 Depth=1
	v_ashrrev_i32_e32 v81, 31, v145
	v_add_co_u32 v82, vcc_lo, v32, v144
	v_add_co_ci_u32_e32 v83, vcc_lo, v33, v27, vcc_lo
	s_delay_alu instid0(VALU_DEP_3) | instskip(NEXT) | instid1(VALU_DEP_3)
	v_lshrrev_b32_e32 v81, 27, v81
	v_add_co_u32 v82, vcc_lo, v82, v66
	s_delay_alu instid0(VALU_DEP_3) | instskip(NEXT) | instid1(VALU_DEP_3)
	v_add_co_ci_u32_e32 v83, vcc_lo, v83, v67, vcc_lo
	v_add_nc_u32_e32 v81, v145, v81
	s_delay_alu instid0(VALU_DEP_3) | instskip(NEXT) | instid1(VALU_DEP_3)
	v_add_co_u32 v84, vcc_lo, v82, v8
	v_add_co_ci_u32_e32 v85, vcc_lo, v83, v9, vcc_lo
	s_delay_alu instid0(VALU_DEP_3) | instskip(SKIP_2) | instid1(VALU_DEP_3)
	v_and_b32_e32 v81, 0xffffffe0, v81
	v_add_co_u32 v86, vcc_lo, v82, v6
	v_add_co_ci_u32_e32 v146, vcc_lo, v83, v7, vcc_lo
	v_sub_nc_u32_e32 v81, v145, v81
	s_mov_b32 s23, 0
	s_delay_alu instid0(VALU_DEP_1) | instskip(SKIP_3) | instid1(VALU_DEP_4)
	v_lshl_add_u32 v80, v80, 10, v81
	v_add_co_u32 v81, vcc_lo, v84, v54
	v_add_co_ci_u32_e32 v82, vcc_lo, v85, v55, vcc_lo
	v_add_co_u32 v84, vcc_lo, v86, v52
	v_ashrrev_i32_e32 v83, 31, v80
	v_add_co_ci_u32_e32 v85, vcc_lo, v146, v53, vcc_lo
.LBB6_89:                               ;   Parent Loop BB6_65 Depth=1
                                        ; =>  This Inner Loop Header: Depth=2
	v_add_co_u32 v146, vcc_lo, v80, v81
	s_delay_alu instid0(VALU_DEP_3)
	v_add_co_ci_u32_e32 v147, vcc_lo, v83, v82, vcc_lo
	s_clause 0x1f
	flat_load_u8 v86, v[146:147] slc dlc
	flat_load_u8 v148, v[146:147] offset:32 slc dlc
	flat_load_u8 v149, v[146:147] offset:64 slc dlc
	;; [unrolled: 1-line block ×31, first 2 shown]
	v_add_co_u32 v146, vcc_lo, v80, v84
	v_add_co_ci_u32_e32 v147, vcc_lo, v83, v85, vcc_lo
	v_sub_co_u32 v68, vcc_lo, v68, v100
	v_subrev_co_ci_u32_e32 v69, vcc_lo, 0, v69, vcc_lo
	v_add_co_u32 v81, vcc_lo, v81, v116
	v_add_co_ci_u32_e32 v82, vcc_lo, v82, v117, vcc_lo
	v_add_co_u32 v84, vcc_lo, v84, v116
	v_add_co_ci_u32_e32 v85, vcc_lo, v85, v117, vcc_lo
	v_cmp_gt_i64_e32 vcc_lo, 1, v[68:69]
	s_waitcnt vmcnt(31) lgkmcnt(31)
	flat_store_b8 v[146:147], v86 glc slc dlc
	s_waitcnt vmcnt(30) lgkmcnt(31)
	flat_store_b8 v[146:147], v148 offset:32 glc slc dlc
	s_waitcnt vmcnt(29) lgkmcnt(31)
	flat_store_b8 v[146:147], v149 offset:64 glc slc dlc
	;; [unrolled: 2-line block ×31, first 2 shown]
	s_or_b32 s23, vcc_lo, s23
	s_delay_alu instid0(SALU_CYCLE_1)
	s_and_not1_b32 exec_lo, exec_lo, s23
	s_cbranch_execnz .LBB6_89
; %bb.90:                               ;   in Loop: Header=BB6_65 Depth=1
	s_or_b32 exec_lo, exec_lo, s23
.LBB6_91:                               ;   in Loop: Header=BB6_65 Depth=1
	s_delay_alu instid0(SALU_CYCLE_1) | instskip(SKIP_2) | instid1(VALU_DEP_1)
	s_or_b32 exec_lo, exec_lo, s11
	v_lshlrev_b64 v[69:70], 10, v[70:71]
	s_mov_b32 s23, exec_lo
	v_cmpx_ne_u64_e64 v[64:65], v[69:70]
	s_cbranch_execz .LBB6_95
; %bb.92:                               ;   in Loop: Header=BB6_65 Depth=1
	v_ashrrev_i32_e32 v71, 31, v145
	v_lshlrev_b32_e32 v68, 5, v68
	s_delay_alu instid0(VALU_DEP_2) | instskip(NEXT) | instid1(VALU_DEP_1)
	v_lshrrev_b32_e32 v71, 27, v71
	v_add_nc_u32_e32 v71, v145, v71
	s_delay_alu instid0(VALU_DEP_1) | instskip(NEXT) | instid1(VALU_DEP_1)
	v_and_b32_e32 v71, 0xffffffe0, v71
	v_sub_nc_u32_e32 v71, v145, v71
	s_delay_alu instid0(VALU_DEP_1) | instskip(NEXT) | instid1(VALU_DEP_1)
	v_sub_nc_u32_e32 v68, v71, v68
	v_ashrrev_i32_e32 v71, 31, v68
	v_add_co_u32 v80, vcc_lo, v69, v68
	s_delay_alu instid0(VALU_DEP_2) | instskip(NEXT) | instid1(VALU_DEP_2)
	v_add_co_ci_u32_e32 v81, vcc_lo, v70, v71, vcc_lo
	v_sub_co_u32 v64, vcc_lo, v64, v80
	s_delay_alu instid0(VALU_DEP_2) | instskip(NEXT) | instid1(VALU_DEP_1)
	v_sub_co_ci_u32_e32 v65, vcc_lo, v65, v81, vcc_lo
	v_cmp_lt_i64_e32 vcc_lo, 0, v[64:65]
	s_and_b32 exec_lo, exec_lo, vcc_lo
	s_cbranch_execz .LBB6_95
; %bb.93:                               ;   in Loop: Header=BB6_65 Depth=1
	v_add_co_u32 v80, vcc_lo, v32, v144
	v_add_co_ci_u32_e32 v27, vcc_lo, v33, v27, vcc_lo
	s_mov_b32 s24, 0
	s_delay_alu instid0(VALU_DEP_2) | instskip(NEXT) | instid1(VALU_DEP_2)
	v_add_co_u32 v66, vcc_lo, v80, v66
	v_add_co_ci_u32_e32 v27, vcc_lo, v27, v67, vcc_lo
	s_delay_alu instid0(VALU_DEP_2) | instskip(NEXT) | instid1(VALU_DEP_2)
	v_add_co_u32 v66, vcc_lo, v66, v69
	v_add_co_ci_u32_e32 v67, vcc_lo, v27, v70, vcc_lo
	v_add_co_u32 v8, vcc_lo, v8, v54
	v_add_co_ci_u32_e32 v9, vcc_lo, v9, v55, vcc_lo
	s_delay_alu instid0(VALU_DEP_4) | instskip(NEXT) | instid1(VALU_DEP_4)
	v_add_co_u32 v27, vcc_lo, v66, v68
	v_add_co_ci_u32_e32 v54, vcc_lo, v67, v71, vcc_lo
	v_add_co_u32 v6, vcc_lo, v6, v52
	v_add_co_ci_u32_e32 v7, vcc_lo, v7, v53, vcc_lo
.LBB6_94:                               ;   Parent Loop BB6_65 Depth=1
                                        ; =>  This Inner Loop Header: Depth=2
	s_delay_alu instid0(VALU_DEP_4) | instskip(NEXT) | instid1(VALU_DEP_4)
	v_add_co_u32 v52, vcc_lo, v8, v27
	v_add_co_ci_u32_e32 v53, vcc_lo, v9, v54, vcc_lo
	v_sub_co_u32 v64, vcc_lo, v64, v118
	v_subrev_co_ci_u32_e32 v65, vcc_lo, 0, v65, vcc_lo
	flat_load_u8 v55, v[52:53] slc dlc
	v_add_co_u32 v52, vcc_lo, v6, v27
	v_add_co_ci_u32_e32 v53, vcc_lo, v7, v54, vcc_lo
	v_cmp_gt_i64_e32 vcc_lo, 1, v[64:65]
	v_add_co_u32 v27, s11, v27, v118
	s_delay_alu instid0(VALU_DEP_1)
	v_add_co_ci_u32_e64 v54, s11, v54, v119, s11
	s_or_b32 s24, vcc_lo, s24
	s_waitcnt vmcnt(0) lgkmcnt(0)
	flat_store_b8 v[52:53], v55 glc slc dlc
	s_and_not1_b32 exec_lo, exec_lo, s24
	s_cbranch_execnz .LBB6_94
.LBB6_95:                               ;   in Loop: Header=BB6_65 Depth=1
	s_or_b32 exec_lo, exec_lo, s23
.LBB6_96:                               ;   in Loop: Header=BB6_65 Depth=1
	s_delay_alu instid0(SALU_CYCLE_1) | instskip(NEXT) | instid1(SALU_CYCLE_1)
	s_or_b32 exec_lo, exec_lo, s22
	s_xor_b32 s11, exec_lo, -1
.LBB6_97:                               ;   in Loop: Header=BB6_65 Depth=1
	s_or_b32 exec_lo, exec_lo, s12
.LBB6_98:                               ;   in Loop: Header=BB6_65 Depth=1
	s_and_saveexec_b32 s22, s11
	s_cbranch_execz .LBB6_700
; %bb.99:                               ;   in Loop: Header=BB6_65 Depth=1
	s_mov_b32 s23, exec_lo
	v_cmpx_lt_i64_e32 0, v[50:51]
	s_cbranch_execz .LBB6_699
; %bb.100:                              ;   in Loop: Header=BB6_65 Depth=1
	v_mov_b32_e32 v6, 0
	v_mov_b32_e32 v7, 0
	s_add_i32 s24, s14, -1
	s_cmp_gt_u32 s14, 1
	s_mov_b32 s25, 0
	s_cselect_b32 s26, -1, 0
.LBB6_101:                              ;   Parent Loop BB6_65 Depth=1
                                        ; =>  This Loop Header: Depth=2
                                        ;       Child Loop BB6_103 Depth 3
                                        ;         Child Loop BB6_112 Depth 4
                                        ;         Child Loop BB6_139 Depth 4
	;; [unrolled: 1-line block ×8, first 2 shown]
                                        ;       Child Loop BB6_242 Depth 3
                                        ;         Child Loop BB6_248 Depth 4
                                        ;         Child Loop BB6_275 Depth 4
                                        ;       Child Loop BB6_299 Depth 3
                                        ;         Child Loop BB6_301 Depth 4
                                        ;           Child Loop BB6_309 Depth 5
                                        ;           Child Loop BB6_341 Depth 5
	;; [unrolled: 1-line block ×8, first 2 shown]
                                        ;         Child Loop BB6_444 Depth 4
                                        ;           Child Loop BB6_450 Depth 5
                                        ;           Child Loop BB6_482 Depth 5
                                        ;       Child Loop BB6_507 Depth 3
                                        ;         Child Loop BB6_516 Depth 4
                                        ;         Child Loop BB6_543 Depth 4
	;; [unrolled: 1-line block ×8, first 2 shown]
                                        ;       Child Loop BB6_644 Depth 3
                                        ;         Child Loop BB6_650 Depth 4
                                        ;         Child Loop BB6_677 Depth 4
	v_sub_co_u32 v8, vcc_lo, v50, v6
	v_sub_co_ci_u32_e32 v9, vcc_lo, v51, v7, vcc_lo
	v_mov_b32_e32 v64, 0
	s_delay_alu instid0(VALU_DEP_2) | instskip(SKIP_1) | instid1(VALU_DEP_1)
	v_cmp_lt_i64_e32 vcc_lo, v[34:35], v[8:9]
	v_cndmask_b32_e32 v8, v8, v34, vcc_lo
	v_max_i32_e32 v66, 0, v8
	s_delay_alu instid0(VALU_DEP_1) | instskip(NEXT) | instid1(VALU_DEP_1)
	v_add_nc_u32_e32 v9, 31, v66
	v_lshrrev_b32_e32 v9, 1, v9
	s_delay_alu instid0(VALU_DEP_1) | instskip(SKIP_1) | instid1(VALU_DEP_2)
	v_and_b32_e32 v9, 0x3ffffff0, v9
	v_cmp_lt_i32_e32 vcc_lo, 0, v8
	v_max_i32_e32 v67, s19, v9
	v_mov_b32_e32 v9, 0
	s_and_b32 s27, s21, vcc_lo
	s_delay_alu instid0(VALU_DEP_2)
	v_mov_b32_e32 v8, v67
	s_and_saveexec_b32 s28, s27
	s_cbranch_execz .LBB6_240
; %bb.102:                              ;   in Loop: Header=BB6_101 Depth=2
	v_mov_b32_e32 v64, 0
	v_mov_b32_e32 v8, v67
	s_mov_b32 s30, 1
	s_mov_b32 vcc_hi, -1
	s_mov_b32 s29, 0
.LBB6_103:                              ;   Parent Loop BB6_65 Depth=1
                                        ;     Parent Loop BB6_101 Depth=2
                                        ; =>    This Loop Header: Depth=3
                                        ;         Child Loop BB6_112 Depth 4
                                        ;         Child Loop BB6_139 Depth 4
	;; [unrolled: 1-line block ×8, first 2 shown]
	s_and_saveexec_b32 s11, s0
	s_cbranch_execz .LBB6_106
; %bb.104:                              ;   in Loop: Header=BB6_103 Depth=3
	s_cbranch_execnz .LBB6_764
; %bb.105:                              ;   in Loop: Header=BB6_103 Depth=3
	ds_load_b64 v[52:53], v0
	s_waitcnt lgkmcnt(0)
	v_add_co_u32 v9, vcc_lo, v52, v132
	v_add_co_ci_u32_e32 v27, vcc_lo, v53, v133, vcc_lo
	v_ashrrev_i32_e32 v53, 31, v64
	s_delay_alu instid0(VALU_DEP_3) | instskip(NEXT) | instid1(VALU_DEP_3)
	v_add_co_u32 v9, vcc_lo, v9, v6
	v_add_co_ci_u32_e32 v27, vcc_lo, v27, v7, vcc_lo
	s_delay_alu instid0(VALU_DEP_2) | instskip(NEXT) | instid1(VALU_DEP_2)
	v_add_co_u32 v52, vcc_lo, v9, v64
	v_add_co_ci_u32_e32 v53, vcc_lo, v27, v53, vcc_lo
	v_mov_b32_e32 v27, v26
	ds_store_b64 v0, v[52:53]
	ds_store_b64 v0, v[26:27]
.LBB6_106:                              ;   in Loop: Header=BB6_103 Depth=3
	s_or_b32 exec_lo, exec_lo, s11
	v_and_b32_e32 v9, 8, v97
	s_mov_b32 s12, -1
	s_mov_b32 s11, exec_lo
	s_delay_alu instid0(VALU_DEP_1)
	v_cmpx_ne_u32_e32 0, v9
	s_cbranch_execz .LBB6_120
; %bb.107:                              ;   in Loop: Header=BB6_103 Depth=3
	v_add_co_u32 v54, vcc_lo, v22, 8
	v_add_co_ci_u32_e32 v55, vcc_lo, 0, v23, vcc_lo
	v_add_co_u32 v52, vcc_lo, v18, 2
	v_add_co_ci_u32_e32 v53, vcc_lo, 0, v19, vcc_lo
	v_mov_b32_e32 v9, 1
	s_mov_b32 s12, exec_lo
	s_delay_alu instid0(VALU_DEP_2)
	v_cmpx_lt_u64_e64 v[54:55], v[52:53]
	s_cbranch_execz .LBB6_119
; %bb.108:                              ;   in Loop: Header=BB6_103 Depth=3
	v_mov_b32_e32 v9, 0
	s_mov_b32 s31, 0
                                        ; implicit-def: $sgpr34
	s_branch .LBB6_112
.LBB6_109:                              ;   in Loop: Header=BB6_112 Depth=4
	s_or_b32 exec_lo, exec_lo, s38
	v_mov_b32_e32 v27, 0
	s_or_not1_b32 s37, s37, exec_lo
.LBB6_110:                              ;   in Loop: Header=BB6_112 Depth=4
	s_or_b32 exec_lo, exec_lo, s36
	s_delay_alu instid0(VALU_DEP_1) | instskip(SKIP_2) | instid1(SALU_CYCLE_1)
	v_mov_b32_e32 v9, v27
	s_and_not1_b32 vcc_lo, s34, exec_lo
	s_and_b32 s34, s37, exec_lo
	s_or_b32 s34, vcc_lo, s34
.LBB6_111:                              ;   in Loop: Header=BB6_112 Depth=4
	s_or_b32 exec_lo, exec_lo, s35
	s_waitcnt vmcnt(0) lgkmcnt(0)
	v_add_co_u32 v54, vcc_lo, v22, 8
	v_add_co_ci_u32_e32 v55, vcc_lo, 0, v23, vcc_lo
	s_xor_b32 s35, s34, -1
	s_delay_alu instid0(VALU_DEP_1) | instskip(SKIP_1) | instid1(SALU_CYCLE_1)
	v_cmp_ge_u64_e32 vcc_lo, v[54:55], v[52:53]
	s_or_b32 vcc_lo, s35, vcc_lo
	s_and_b32 vcc_lo, exec_lo, vcc_lo
	s_delay_alu instid0(SALU_CYCLE_1) | instskip(NEXT) | instid1(SALU_CYCLE_1)
	s_or_b32 s31, vcc_lo, s31
	s_and_not1_b32 exec_lo, exec_lo, s31
	s_cbranch_execz .LBB6_118
.LBB6_112:                              ;   Parent Loop BB6_65 Depth=1
                                        ;     Parent Loop BB6_101 Depth=2
                                        ;       Parent Loop BB6_103 Depth=3
                                        ; =>      This Inner Loop Header: Depth=4
	s_sleep 1
	flat_load_b64 v[22:23], v[16:17] glc
	v_and_b32_e32 v27, 64, v97
	s_and_not1_b32 s34, s34, exec_lo
	s_mov_b32 s35, exec_lo
	s_delay_alu instid0(VALU_DEP_1)
	v_cmpx_eq_u32_e32 0, v27
	s_cbranch_execz .LBB6_111
; %bb.113:                              ;   in Loop: Header=BB6_112 Depth=4
	v_add_nc_u32_e32 v27, 1, v9
	s_mov_b32 s37, -1
	s_mov_b32 s36, exec_lo
	v_cmpx_lt_i32_e32 0x270e, v9
	s_cbranch_execz .LBB6_110
; %bb.114:                              ;   in Loop: Header=BB6_112 Depth=4
	s_cbranch_execnz .LBB6_779
; %bb.115:                              ;   in Loop: Header=BB6_112 Depth=4
	ds_load_b64 v[54:55], v0
	s_mov_b32 s38, exec_lo
	s_waitcnt vmcnt(0) lgkmcnt(0)
	s_waitcnt_vscnt null, 0x0
	flat_load_b32 v9, v[54:55] glc
	s_waitcnt vmcnt(0) lgkmcnt(0)
	buffer_gl1_inv
	buffer_gl0_inv
	v_cmpx_ne_u32_e32 0, v9
	s_cbranch_execz .LBB6_109
; %bb.116:                              ;   in Loop: Header=BB6_112 Depth=4
	ds_store_b32 v0, v9
	s_cbranch_execnz .LBB6_797
; %bb.117:                              ;   in Loop: Header=BB6_112 Depth=4
	v_or_b32_e32 v97, 64, v97
	s_xor_b32 s37, exec_lo, -1
	s_branch .LBB6_109
.LBB6_118:                              ;   in Loop: Header=BB6_103 Depth=3
	s_or_b32 exec_lo, exec_lo, s31
	v_and_b32_e32 v9, 8, v97
.LBB6_119:                              ;   in Loop: Header=BB6_103 Depth=3
	s_or_b32 exec_lo, exec_lo, s12
	s_delay_alu instid0(VALU_DEP_1)
	v_cmp_eq_u32_e32 vcc_lo, 0, v9
	;;#ASMSTART
	s_wakeup
	;;#ASMEND
	s_or_not1_b32 s12, vcc_lo, exec_lo
.LBB6_120:                              ;   in Loop: Header=BB6_103 Depth=3
	s_or_b32 exec_lo, exec_lo, s11
	v_sub_nc_u32_e32 v9, v66, v64
	s_xor_b32 s11, s12, -1
	s_delay_alu instid0(VALU_DEP_1)
	v_min_i32_e32 v8, v8, v9
	s_and_saveexec_b32 s12, s11
	s_cbranch_execz .LBB6_130
; %bb.121:                              ;   in Loop: Header=BB6_103 Depth=3
	v_and_b32_e32 v9, 0x100, v97
	v_and_b32_e32 v27, 7, v18
	s_mov_b32 s11, -1
	s_mov_b32 s31, exec_lo
                                        ; implicit-def: $vgpr52_vgpr53
	s_delay_alu instid0(VALU_DEP_2)
	v_cmpx_ne_u32_e32 0, v9
	s_cbranch_execz .LBB6_125
; %bb.122:                              ;   in Loop: Header=BB6_103 Depth=3
	v_mad_u64_u32 v[54:55], null, v27, 24, v[4:5]
	v_ashrrev_i32_e32 v9, 31, v8
	flat_load_b32 v52, v[54:55]
	flat_store_b64 v[54:55], v[8:9] offset:8
	s_waitcnt vmcnt(0) lgkmcnt(1)
	v_cmp_ne_u32_e32 vcc_lo, 1, v52
	v_cmp_eq_u32_e64 s11, 1, v52
                                        ; implicit-def: $vgpr52_vgpr53
	s_delay_alu instid0(VALU_DEP_1)
	s_and_saveexec_b32 s34, s11
	s_cbranch_execz .LBB6_124
; %bb.123:                              ;   in Loop: Header=BB6_103 Depth=3
	flat_load_b32 v52, v[54:55] offset:4 glc
	s_waitcnt vmcnt(0) lgkmcnt(0)
	v_ashrrev_i32_e32 v53, 31, v52
.LBB6_124:                              ;   in Loop: Header=BB6_103 Depth=3
	s_or_b32 exec_lo, exec_lo, s34
	s_delay_alu instid0(SALU_CYCLE_1)
	s_or_not1_b32 s11, vcc_lo, exec_lo
.LBB6_125:                              ;   in Loop: Header=BB6_103 Depth=3
	s_or_b32 exec_lo, exec_lo, s31
	s_and_saveexec_b32 vcc_lo, s11
; %bb.126:                              ;   in Loop: Header=BB6_103 Depth=3
	v_mad_i64_i32 v[52:53], null, v27, v98, 0
; %bb.127:                              ;   in Loop: Header=BB6_103 Depth=3
	s_or_b32 exec_lo, exec_lo, vcc_lo
	s_delay_alu instid0(VALU_DEP_1) | instskip(SKIP_1) | instid1(VALU_DEP_3)
	v_add_co_u32 v52, vcc_lo, v20, v52
	v_and_b32_e32 v9, 0x2000, v97
	v_add_co_ci_u32_e32 v53, vcc_lo, v21, v53, vcc_lo
	s_mov_b32 s11, exec_lo
	ds_store_b64 v0, v[52:53] offset:784
	v_cmpx_ne_u32_e32 0, v9
	s_cbranch_execz .LBB6_129
; %bb.128:                              ;   in Loop: Header=BB6_103 Depth=3
	ds_load_b64 v[52:53], v0 offset:584
	s_waitcnt lgkmcnt(0)
	v_add_co_u32 v52, vcc_lo, v52, 1
	v_add_co_ci_u32_e32 v53, vcc_lo, 0, v53, vcc_lo
	ds_store_b64 v0, v[52:53] offset:584
.LBB6_129:                              ;   in Loop: Header=BB6_103 Depth=3
	s_or_b32 exec_lo, exec_lo, s11
	v_add_co_u32 v18, vcc_lo, v18, 2
	v_add_co_ci_u32_e32 v19, vcc_lo, 0, v19, vcc_lo
.LBB6_130:                              ;   in Loop: Header=BB6_103 Depth=3
	s_or_b32 exec_lo, exec_lo, s12
	s_and_saveexec_b32 s11, s4
	s_cbranch_execz .LBB6_152
; %bb.131:                              ;   in Loop: Header=BB6_103 Depth=3
	s_and_saveexec_b32 s12, s5
	s_delay_alu instid0(SALU_CYCLE_1)
	s_xor_b32 s12, exec_lo, s12
	s_cbranch_execz .LBB6_149
; %bb.132:                              ;   in Loop: Header=BB6_103 Depth=3
	s_and_saveexec_b32 s31, s2
	s_cbranch_execz .LBB6_148
; %bb.133:                              ;   in Loop: Header=BB6_103 Depth=3
	s_mov_b32 s35, exec_lo
	s_mov_b32 s34, exec_lo
	v_mbcnt_lo_u32_b32 v9, s35, 0
	s_waitcnt lgkmcnt(0)
	s_waitcnt_vscnt null, 0x0
	buffer_gl1_inv
	buffer_gl0_inv
	v_cmpx_eq_u32_e32 0, v9
	s_cbranch_execz .LBB6_135
; %bb.134:                              ;   in Loop: Header=BB6_103 Depth=3
	s_bcnt1_i32_b32 vcc_lo, s35
	s_delay_alu instid0(SALU_CYCLE_1)
	v_dual_mov_b32 v53, v26 :: v_dual_mov_b32 v52, vcc_lo
	ds_add_u64 v0, v[52:53]
	s_cbranch_execnz .LBB6_815
.LBB6_135:                              ;   in Loop: Header=BB6_103 Depth=3
	s_or_b32 exec_lo, exec_lo, s34
	s_cbranch_execnz .LBB6_803
; %bb.136:                              ;   in Loop: Header=BB6_103 Depth=3
	ds_load_b64 v[52:53], v0
	v_add_co_u32 v10, vcc_lo, v10, v100
	v_add_co_ci_u32_e32 v11, vcc_lo, 0, v11, vcc_lo
	s_mov_b32 s34, exec_lo
	s_waitcnt lgkmcnt(0)
	s_delay_alu instid0(VALU_DEP_1)
	v_cmpx_lt_u64_e64 v[52:53], v[10:11]
	s_cbranch_execz .LBB6_147
; %bb.137:                              ;   in Loop: Header=BB6_103 Depth=3
	s_mov_b32 s35, 0
	s_mov_b32 s38, 0
                                        ; implicit-def: $sgpr36
                                        ; implicit-def: $sgpr37
	s_branch .LBB6_139
.LBB6_138:                              ;   in Loop: Header=BB6_139 Depth=4
	s_or_b32 exec_lo, exec_lo, s40
	s_delay_alu instid0(SALU_CYCLE_1) | instskip(NEXT) | instid1(SALU_CYCLE_1)
	s_and_b32 vcc_lo, exec_lo, vcc_lo
	s_or_b32 s35, vcc_lo, s35
	s_and_not1_b32 vcc_lo, s36, exec_lo
	s_and_b32 s36, s37, exec_lo
	s_delay_alu instid0(SALU_CYCLE_1)
	s_or_b32 s36, vcc_lo, s36
	s_and_not1_b32 exec_lo, exec_lo, s35
	s_cbranch_execz .LBB6_145
.LBB6_139:                              ;   Parent Loop BB6_65 Depth=1
                                        ;     Parent Loop BB6_101 Depth=2
                                        ;       Parent Loop BB6_103 Depth=3
                                        ; =>      This Inner Loop Header: Depth=4
	s_add_i32 s38, s38, 1
                                        ; implicit-def: $sgpr40
	s_delay_alu instid0(SALU_CYCLE_1) | instskip(SKIP_1) | instid1(SALU_CYCLE_1)
	s_cmpk_lg_i32 s38, 0x2710
	s_cselect_b32 s39, -1, 0
	s_and_b32 vcc_lo, exec_lo, s39
	s_cbranch_vccz .LBB6_143
.LBB6_140:                              ;   in Loop: Header=BB6_139 Depth=4
	s_and_not1_b32 s37, s37, exec_lo
	s_and_b32 s40, s40, exec_lo
	s_mov_b32 vcc_lo, -1
	s_or_b32 s37, s37, s40
	s_and_saveexec_b32 s40, s39
	s_cbranch_execz .LBB6_138
; %bb.141:                              ;   in Loop: Header=BB6_139 Depth=4
	s_sleep 1
	s_cbranch_execnz .LBB6_833
; %bb.142:                              ;   in Loop: Header=BB6_139 Depth=4
	ds_load_b64 v[52:53], v0
	s_and_not1_b32 s37, s37, exec_lo
	s_waitcnt lgkmcnt(0)
	v_cmp_ge_u64_e32 vcc_lo, v[52:53], v[10:11]
	s_or_not1_b32 vcc_lo, vcc_lo, exec_lo
	s_branch .LBB6_138
.LBB6_143:                              ;   in Loop: Header=BB6_139 Depth=4
	s_cbranch_execnz .LBB6_839
; %bb.144:                              ;   in Loop: Header=BB6_139 Depth=4
	ds_load_b64 v[52:53], v0
	s_and_not1_b32 s39, s39, exec_lo
	s_mov_b32 s38, 0
	s_mov_b32 s40, -1
	s_waitcnt lgkmcnt(0)
	flat_load_b32 v9, v[52:53] glc
	s_waitcnt vmcnt(0) lgkmcnt(0)
	buffer_gl1_inv
	buffer_gl0_inv
	v_cmp_eq_u32_e32 vcc_lo, 0, v9
	s_and_b32 vcc_lo, vcc_lo, exec_lo
	s_delay_alu instid0(SALU_CYCLE_1)
	s_or_b32 s39, s39, vcc_lo
	s_branch .LBB6_140
.LBB6_145:                              ;   in Loop: Header=BB6_103 Depth=3
	s_or_b32 exec_lo, exec_lo, s35
	s_and_saveexec_b32 vcc_lo, s36
	s_delay_alu instid0(SALU_CYCLE_1)
	s_xor_b32 vcc_lo, exec_lo, vcc_lo
	s_cbranch_execz .LBB6_147
; %bb.146:                              ;   in Loop: Header=BB6_103 Depth=3
	ds_store_b32 v0, v131
	s_cbranch_execnz .LBB6_953
.LBB6_147:                              ;   in Loop: Header=BB6_103 Depth=3
	s_or_b32 exec_lo, exec_lo, s34
	;;#ASMSTART
	s_wakeup
	;;#ASMEND
.LBB6_148:                              ;   in Loop: Header=BB6_103 Depth=3
	s_or_b32 exec_lo, exec_lo, s31
.LBB6_149:                              ;   in Loop: Header=BB6_103 Depth=3
	s_and_not1_saveexec_b32 s12, s12
	s_cbranch_execz .LBB6_151
; %bb.150:                              ;   in Loop: Header=BB6_103 Depth=3
	s_waitcnt lgkmcnt(0)
	s_waitcnt_vscnt null, 0x0
	buffer_gl1_inv
	buffer_gl0_inv
	s_barrier
.LBB6_151:                              ;   in Loop: Header=BB6_103 Depth=3
	s_or_b32 exec_lo, exec_lo, s12
.LBB6_152:                              ;   in Loop: Header=BB6_103 Depth=3
	s_delay_alu instid0(SALU_CYCLE_1)
	s_or_b32 exec_lo, exec_lo, s11
	s_cbranch_execnz .LBB6_762
; %bb.153:                              ;   in Loop: Header=BB6_103 Depth=3
	ds_load_b32 v27, v0
	v_and_b32_e32 v9, 0x4000, v97
	s_xor_b32 s11, s3, -1
	s_delay_alu instid0(VALU_DEP_1) | instskip(SKIP_1) | instid1(SALU_CYCLE_1)
	v_cmp_ne_u32_e32 vcc_lo, 0, v9
	s_and_b32 s12, s11, vcc_lo
	s_and_saveexec_b32 s11, s12
	s_cbranch_execz .LBB6_175
; %bb.154:                              ;   in Loop: Header=BB6_103 Depth=3
	s_and_saveexec_b32 s12, s5
	s_delay_alu instid0(SALU_CYCLE_1)
	s_xor_b32 s12, exec_lo, s12
	s_cbranch_execz .LBB6_172
; %bb.155:                              ;   in Loop: Header=BB6_103 Depth=3
	s_and_saveexec_b32 s31, s2
	s_cbranch_execz .LBB6_171
; %bb.156:                              ;   in Loop: Header=BB6_103 Depth=3
	s_mov_b32 s35, exec_lo
	s_mov_b32 s34, exec_lo
	v_mbcnt_lo_u32_b32 v9, s35, 0
	s_waitcnt lgkmcnt(0)
	s_waitcnt_vscnt null, 0x0
	buffer_gl1_inv
	buffer_gl0_inv
	v_cmpx_eq_u32_e32 0, v9
	s_cbranch_execz .LBB6_158
; %bb.157:                              ;   in Loop: Header=BB6_103 Depth=3
	s_bcnt1_i32_b32 vcc_lo, s35
	s_delay_alu instid0(SALU_CYCLE_1)
	v_dual_mov_b32 v53, v26 :: v_dual_mov_b32 v52, vcc_lo
	ds_add_u64 v0, v[52:53]
	s_cbranch_execnz .LBB6_831
.LBB6_158:                              ;   in Loop: Header=BB6_103 Depth=3
	s_or_b32 exec_lo, exec_lo, s34
	s_cbranch_execnz .LBB6_829
; %bb.159:                              ;   in Loop: Header=BB6_103 Depth=3
	ds_load_b64 v[52:53], v0
	v_add_co_u32 v10, vcc_lo, v10, v100
	v_add_co_ci_u32_e32 v11, vcc_lo, 0, v11, vcc_lo
	s_mov_b32 s34, exec_lo
	s_waitcnt lgkmcnt(0)
	s_delay_alu instid0(VALU_DEP_1)
	v_cmpx_lt_u64_e64 v[52:53], v[10:11]
	s_cbranch_execz .LBB6_170
; %bb.160:                              ;   in Loop: Header=BB6_103 Depth=3
	s_mov_b32 s35, 0
	s_mov_b32 s38, 0
                                        ; implicit-def: $sgpr36
                                        ; implicit-def: $sgpr37
	s_branch .LBB6_162
.LBB6_161:                              ;   in Loop: Header=BB6_162 Depth=4
	s_or_b32 exec_lo, exec_lo, s40
	s_delay_alu instid0(SALU_CYCLE_1) | instskip(NEXT) | instid1(SALU_CYCLE_1)
	s_and_b32 vcc_lo, exec_lo, vcc_lo
	s_or_b32 s35, vcc_lo, s35
	s_and_not1_b32 vcc_lo, s36, exec_lo
	s_and_b32 s36, s37, exec_lo
	s_delay_alu instid0(SALU_CYCLE_1)
	s_or_b32 s36, vcc_lo, s36
	s_and_not1_b32 exec_lo, exec_lo, s35
	s_cbranch_execz .LBB6_168
.LBB6_162:                              ;   Parent Loop BB6_65 Depth=1
                                        ;     Parent Loop BB6_101 Depth=2
                                        ;       Parent Loop BB6_103 Depth=3
                                        ; =>      This Inner Loop Header: Depth=4
	s_add_i32 s38, s38, 1
                                        ; implicit-def: $sgpr40
	s_delay_alu instid0(SALU_CYCLE_1) | instskip(SKIP_1) | instid1(SALU_CYCLE_1)
	s_cmpk_lg_i32 s38, 0x2710
	s_cselect_b32 s39, -1, 0
	s_and_b32 vcc_lo, exec_lo, s39
	s_cbranch_vccz .LBB6_166
.LBB6_163:                              ;   in Loop: Header=BB6_162 Depth=4
	s_and_not1_b32 s37, s37, exec_lo
	s_and_b32 s40, s40, exec_lo
	s_mov_b32 vcc_lo, -1
	s_or_b32 s37, s37, s40
	s_and_saveexec_b32 s40, s39
	s_cbranch_execz .LBB6_161
; %bb.164:                              ;   in Loop: Header=BB6_162 Depth=4
	s_sleep 1
	s_cbranch_execnz .LBB6_871
; %bb.165:                              ;   in Loop: Header=BB6_162 Depth=4
	ds_load_b64 v[52:53], v0
	s_and_not1_b32 s37, s37, exec_lo
	s_waitcnt lgkmcnt(0)
	v_cmp_ge_u64_e32 vcc_lo, v[52:53], v[10:11]
	s_or_not1_b32 vcc_lo, vcc_lo, exec_lo
	s_branch .LBB6_161
.LBB6_166:                              ;   in Loop: Header=BB6_162 Depth=4
	s_cbranch_execnz .LBB6_877
; %bb.167:                              ;   in Loop: Header=BB6_162 Depth=4
	ds_load_b64 v[52:53], v0
	s_and_not1_b32 s39, s39, exec_lo
	s_mov_b32 s38, 0
	s_mov_b32 s40, -1
	s_waitcnt lgkmcnt(0)
	flat_load_b32 v9, v[52:53] glc
	s_waitcnt vmcnt(0) lgkmcnt(0)
	buffer_gl1_inv
	buffer_gl0_inv
	v_cmp_eq_u32_e32 vcc_lo, 0, v9
	s_and_b32 vcc_lo, vcc_lo, exec_lo
	s_delay_alu instid0(SALU_CYCLE_1)
	s_or_b32 s39, s39, vcc_lo
	s_branch .LBB6_163
.LBB6_168:                              ;   in Loop: Header=BB6_103 Depth=3
	s_or_b32 exec_lo, exec_lo, s35
	s_and_saveexec_b32 vcc_lo, s36
	s_delay_alu instid0(SALU_CYCLE_1)
	s_xor_b32 vcc_lo, exec_lo, vcc_lo
	s_cbranch_execz .LBB6_170
; %bb.169:                              ;   in Loop: Header=BB6_103 Depth=3
	ds_store_b32 v0, v131
	s_cbranch_execnz .LBB6_965
.LBB6_170:                              ;   in Loop: Header=BB6_103 Depth=3
	s_or_b32 exec_lo, exec_lo, s34
	;;#ASMSTART
	s_wakeup
	;;#ASMEND
.LBB6_171:                              ;   in Loop: Header=BB6_103 Depth=3
	s_or_b32 exec_lo, exec_lo, s31
.LBB6_172:                              ;   in Loop: Header=BB6_103 Depth=3
	s_and_not1_saveexec_b32 s12, s12
	s_cbranch_execz .LBB6_174
; %bb.173:                              ;   in Loop: Header=BB6_103 Depth=3
	s_waitcnt lgkmcnt(0)
	s_waitcnt_vscnt null, 0x0
	buffer_gl1_inv
	buffer_gl0_inv
	s_barrier
.LBB6_174:                              ;   in Loop: Header=BB6_103 Depth=3
	s_or_b32 exec_lo, exec_lo, s12
.LBB6_175:                              ;   in Loop: Header=BB6_103 Depth=3
	s_delay_alu instid0(SALU_CYCLE_1)
	s_or_b32 exec_lo, exec_lo, s11
	s_cbranch_execnz .LBB6_781
; %bb.176:                              ;   in Loop: Header=BB6_103 Depth=3
	ds_load_b64 v[52:53], v0
	v_mov_b32_e32 v9, 0
	s_waitcnt lgkmcnt(0)
	v_cmp_eq_u64_e32 vcc_lo, 0, v[52:53]
	s_or_b32 s11, vcc_lo, vcc_lo
	s_delay_alu instid0(SALU_CYCLE_1)
	s_and_b32 vcc_lo, exec_lo, s11
	s_cbranch_vccnz .LBB6_210
; %bb.177:                              ;   in Loop: Header=BB6_103 Depth=3
	s_mov_b32 s11, -1
	s_and_saveexec_b32 s12, s1
	s_cbranch_execz .LBB6_179
; %bb.178:                              ;   in Loop: Header=BB6_103 Depth=3
	ds_load_b32 v9, v0 offset:720
	s_waitcnt lgkmcnt(0)
	v_and_b32_e32 v9, 15, v9
	s_delay_alu instid0(VALU_DEP_1)
	v_cmp_eq_u32_e32 vcc_lo, 0, v9
	s_or_not1_b32 s11, vcc_lo, exec_lo
.LBB6_179:                              ;   in Loop: Header=BB6_103 Depth=3
	s_or_b32 exec_lo, exec_lo, s12
	s_and_saveexec_b32 s12, s6
	s_cbranch_execz .LBB6_181
; %bb.180:                              ;   in Loop: Header=BB6_103 Depth=3
	ds_load_b32 v9, v0 offset:784
	s_waitcnt lgkmcnt(0)
	v_and_b32_e32 v9, 15, v9
	s_delay_alu instid0(VALU_DEP_1) | instskip(SKIP_3) | instid1(SALU_CYCLE_1)
	v_cmp_eq_u32_e32 vcc_lo, 0, v9
	s_and_b32 vcc_lo, s11, vcc_lo
	s_and_not1_b32 s11, s11, exec_lo
	s_and_b32 vcc_lo, vcc_lo, exec_lo
	s_or_b32 s11, s11, vcc_lo
.LBB6_181:                              ;   in Loop: Header=BB6_103 Depth=3
	s_or_b32 exec_lo, exec_lo, s12
	v_cmp_eq_u32_e32 vcc_lo, 0, v27
	s_xor_b32 s11, s11, -1
	v_mov_b32_e32 v27, 0
	v_cndmask_b32_e64 v52, 0, 1, s11
	;;#ASMSTART
	;;#ASMEND
	v_dual_cndmask_b32 v9, 0, v8 :: v_dual_mov_b32 v68, v0
	s_delay_alu instid0(VALU_DEP_2) | instskip(SKIP_2) | instid1(VALU_DEP_3)
	v_cmp_ne_u32_e32 vcc_lo, 0, v52
	v_mov_b32_e32 v71, v36
	s_mov_b32 s11, -1
	v_mov_b32_e32 v65, v9
	s_cbranch_vccnz .LBB6_197
; %bb.182:                              ;   in Loop: Header=BB6_103 Depth=3
	v_ashrrev_i32_e32 v27, 31, v9
	s_mov_b32 s11, exec_lo
	s_delay_alu instid0(VALU_DEP_1) | instskip(NEXT) | instid1(VALU_DEP_1)
	v_lshrrev_b32_e32 v27, 20, v27
	v_add_nc_u32_e32 v27, v9, v27
	s_delay_alu instid0(VALU_DEP_1) | instskip(NEXT) | instid1(VALU_DEP_1)
	v_ashrrev_i32_e32 v27, 12, v27
	v_sub_nc_u32_e32 v69, v27, v36
	s_delay_alu instid0(VALU_DEP_1)
	v_cmpx_lt_i32_e32 0, v69
	s_cbranch_execz .LBB6_187
; %bb.183:                              ;   in Loop: Header=BB6_103 Depth=3
	s_cbranch_execnz .LBB6_841
; %bb.184:                              ;   in Loop: Header=BB6_103 Depth=3
	ds_load_b64 v[52:53], v0
	s_mov_b32 s12, 0
	s_waitcnt lgkmcnt(0)
	v_dual_mov_b32 v55, v53 :: v_dual_mov_b32 v54, v52
.LBB6_185:                              ;   Parent Loop BB6_65 Depth=1
                                        ;     Parent Loop BB6_101 Depth=2
                                        ;       Parent Loop BB6_103 Depth=3
                                        ; =>      This Inner Loop Header: Depth=4
	s_delay_alu instid0(VALU_DEP_1) | instskip(NEXT) | instid1(VALU_DEP_2)
	v_add_co_u32 v70, vcc_lo, v101, v54
	v_add_co_ci_u32_e32 v71, vcc_lo, v103, v55, vcc_lo
	v_sub_nc_u32_e32 v69, v69, v100
	s_clause 0x7
	global_load_b128 v[80:83], v[70:71], off slc dlc
	global_load_b128 v[144:147], v[70:71], off offset:512 slc dlc
	global_load_b128 v[148:151], v[70:71], off offset:1024 slc dlc
	;; [unrolled: 1-line block ×7, first 2 shown]
	v_add_co_u32 v70, vcc_lo, v101, v52
	v_add_co_ci_u32_e32 v71, vcc_lo, v103, v53, vcc_lo
	v_add_co_u32 v54, vcc_lo, v54, v112
	v_add_co_ci_u32_e32 v55, vcc_lo, v55, v113, vcc_lo
	;; [unrolled: 2-line block ×3, first 2 shown]
	v_cmp_gt_i32_e32 vcc_lo, 1, v69
	s_waitcnt vmcnt(7)
	global_store_b128 v[70:71], v[80:83], off glc slc dlc
	s_waitcnt vmcnt(6)
	global_store_b128 v[70:71], v[144:147], off offset:512 glc slc dlc
	s_waitcnt vmcnt(5)
	global_store_b128 v[70:71], v[148:151], off offset:1024 glc slc dlc
	;; [unrolled: 2-line block ×7, first 2 shown]
	s_or_b32 s12, vcc_lo, s12
	s_delay_alu instid0(SALU_CYCLE_1)
	s_and_not1_b32 exec_lo, exec_lo, s12
	s_cbranch_execnz .LBB6_185
; %bb.186:                              ;   in Loop: Header=BB6_103 Depth=3
	s_or_b32 exec_lo, exec_lo, s12
.LBB6_187:                              ;   in Loop: Header=BB6_103 Depth=3
	s_delay_alu instid0(SALU_CYCLE_1) | instskip(SKIP_3) | instid1(VALU_DEP_1)
	s_or_b32 exec_lo, exec_lo, s11
	v_dual_mov_b32 v27, 0 :: v_dual_lshlrev_b32 v54, 12, v27
	s_mov_b32 s11, 0
	s_mov_b32 s31, exec_lo
                                        ; implicit-def: $vgpr65
                                        ; implicit-def: $vgpr68
                                        ; implicit-def: $vgpr71
	v_cmpx_ne_u32_e64 v9, v54
	s_cbranch_execz .LBB6_196
; %bb.188:                              ;   in Loop: Header=BB6_103 Depth=3
	v_lshlrev_b32_e32 v27, 5, v69
	v_sub_nc_u32_e32 v53, v9, v54
	s_mov_b32 s34, exec_lo
	s_delay_alu instid0(VALU_DEP_2) | instskip(NEXT) | instid1(VALU_DEP_2)
	v_sub_nc_u32_e32 v27, v99, v27
	v_ashrrev_i32_e32 v55, 31, v53
	s_delay_alu instid0(VALU_DEP_2) | instskip(NEXT) | instid1(VALU_DEP_2)
	v_ashrrev_i32_e32 v52, 31, v27
	v_lshrrev_b32_e32 v55, 23, v55
	s_delay_alu instid0(VALU_DEP_2) | instskip(NEXT) | instid1(VALU_DEP_2)
	v_lshrrev_b32_e32 v52, 27, v52
	v_add_nc_u32_e32 v68, v53, v55
	s_delay_alu instid0(VALU_DEP_2) | instskip(NEXT) | instid1(VALU_DEP_2)
	v_add_nc_u32_e32 v52, v27, v52
	v_and_b32_e32 v55, 0xfffffe00, v68
	v_ashrrev_i32_e32 v68, 9, v68
	s_delay_alu instid0(VALU_DEP_3) | instskip(NEXT) | instid1(VALU_DEP_3)
	v_and_b32_e32 v65, 0xffffffe0, v52
	v_sub_nc_u32_e32 v70, v53, v55
	v_ashrrev_i32_e32 v52, 5, v52
	s_delay_alu instid0(VALU_DEP_3) | instskip(NEXT) | instid1(VALU_DEP_3)
	v_sub_nc_u32_e32 v69, v27, v65
	v_cmp_lt_i32_e32 vcc_lo, 15, v70
	s_delay_alu instid0(VALU_DEP_2) | instskip(SKIP_1) | instid1(VALU_DEP_2)
	v_lshlrev_b32_e32 v27, 4, v69
	v_add_co_ci_u32_e64 v68, s11, 0, v68, vcc_lo
	v_lshl_add_u32 v65, v52, 9, v27
	s_delay_alu instid0(VALU_DEP_2) | instskip(NEXT) | instid1(VALU_DEP_2)
	v_sub_nc_u32_e32 v80, v68, v52
	v_sub_nc_u32_e32 v27, v53, v65
	s_delay_alu instid0(VALU_DEP_1)
	v_cmpx_lt_i32_e32 15, v27
	s_cbranch_execz .LBB6_193
; %bb.189:                              ;   in Loop: Header=BB6_103 Depth=3
	s_cbranch_execnz .LBB6_887
; %bb.190:                              ;   in Loop: Header=BB6_103 Depth=3
	ds_load_b64 v[52:53], v0
	v_add_nc_u32_e32 v65, v65, v54
	s_mov_b32 s35, 0
	s_delay_alu instid0(VALU_DEP_1)
	v_ashrrev_i32_e32 v68, 31, v65
.LBB6_191:                              ;   Parent Loop BB6_65 Depth=1
                                        ;     Parent Loop BB6_101 Depth=2
                                        ;       Parent Loop BB6_103 Depth=3
                                        ; =>      This Inner Loop Header: Depth=4
	s_waitcnt lgkmcnt(0)
	v_add_co_u32 v85, s11, v52, v65
	s_delay_alu instid0(VALU_DEP_1)
	v_add_co_ci_u32_e64 v86, s11, v53, v68, s11
	v_sub_nc_u32_e32 v27, v27, v102
	v_add_co_u32 v65, s12, v65, v114
	global_load_b128 v[81:84], v[85:86], off slc dlc
	v_sub_nc_u32_e32 v80, v80, v100
	v_cmp_gt_i32_e64 s11, 16, v27
	v_add_co_ci_u32_e64 v68, s12, v68, v115, s12
	s_delay_alu instid0(VALU_DEP_2)
	s_or_b32 s35, s11, s35
	s_waitcnt vmcnt(0)
	global_store_b128 v[85:86], v[81:84], off glc slc dlc
	s_and_not1_b32 exec_lo, exec_lo, s35
	s_cbranch_execnz .LBB6_191
; %bb.192:                              ;   in Loop: Header=BB6_103 Depth=3
	s_or_b32 exec_lo, exec_lo, s35
.LBB6_193:                              ;   in Loop: Header=BB6_103 Depth=3
	s_delay_alu instid0(SALU_CYCLE_1) | instskip(SKIP_3) | instid1(VALU_DEP_1)
	s_or_b32 exec_lo, exec_lo, s34
	v_dual_mov_b32 v27, 0 :: v_dual_and_b32 v52, 15, v9
	s_mov_b32 s12, 0
	s_mov_b32 s34, exec_lo
                                        ; implicit-def: $vgpr68
                                        ; implicit-def: $vgpr71
	v_cndmask_b32_e32 v65, v70, v52, vcc_lo
	s_delay_alu instid0(VALU_DEP_1)
	v_cmpx_ne_u32_e32 0, v65
; %bb.194:                              ;   in Loop: Header=BB6_103 Depth=3
	v_cmp_lt_i32_e64 s11, 0, v80
	v_sub_nc_u32_e32 v52, v70, v52
	s_mov_b32 s12, exec_lo
	s_delay_alu instid0(VALU_DEP_2) | instskip(NEXT) | instid1(VALU_DEP_1)
	v_cndmask_b32_e64 v27, 0, v100, s11
	v_sub_nc_u32_e32 v27, v27, v80
	s_delay_alu instid0(VALU_DEP_1) | instskip(NEXT) | instid1(VALU_DEP_1)
	v_lshl_add_u32 v68, v27, 5, v69
	v_ashrrev_i32_e32 v27, 31, v68
	s_delay_alu instid0(VALU_DEP_1) | instskip(NEXT) | instid1(VALU_DEP_1)
	v_lshrrev_b32_e32 v27, 27, v27
	v_dual_cndmask_b32 v52, 0, v52 :: v_dual_add_nc_u32 v53, v68, v27
	s_delay_alu instid0(VALU_DEP_1) | instskip(NEXT) | instid1(VALU_DEP_2)
	v_add3_u32 v27, v55, v54, v52
	v_ashrrev_i32_e32 v71, 5, v53
; %bb.195:                              ;   in Loop: Header=BB6_103 Depth=3
	s_or_b32 exec_lo, exec_lo, s34
	s_delay_alu instid0(SALU_CYCLE_1)
	s_and_b32 s11, s12, exec_lo
.LBB6_196:                              ;   in Loop: Header=BB6_103 Depth=3
	s_or_b32 exec_lo, exec_lo, s31
.LBB6_197:                              ;   in Loop: Header=BB6_103 Depth=3
	s_and_saveexec_b32 s12, s11
	s_cbranch_execz .LBB6_209
; %bb.198:                              ;   in Loop: Header=BB6_103 Depth=3
	s_delay_alu instid0(VALU_DEP_1) | instskip(SKIP_1) | instid1(VALU_DEP_1)
	v_ashrrev_i32_e32 v52, 31, v65
	s_mov_b32 s11, exec_lo
	v_lshrrev_b32_e32 v52, 22, v52
	s_delay_alu instid0(VALU_DEP_1) | instskip(NEXT) | instid1(VALU_DEP_1)
	v_add_nc_u32_e32 v52, v65, v52
	v_ashrrev_i32_e32 v70, 10, v52
	s_delay_alu instid0(VALU_DEP_1) | instskip(NEXT) | instid1(VALU_DEP_1)
	v_sub_nc_u32_e32 v69, v70, v71
	v_cmpx_lt_i32_e32 0, v69
	s_cbranch_execz .LBB6_203
; %bb.199:                              ;   in Loop: Header=BB6_103 Depth=3
	s_cbranch_execnz .LBB6_837
; %bb.200:                              ;   in Loop: Header=BB6_103 Depth=3
	v_ashrrev_i32_e32 v52, 31, v68
	s_mov_b32 s31, 0
	s_delay_alu instid0(VALU_DEP_1) | instskip(NEXT) | instid1(VALU_DEP_1)
	v_lshrrev_b32_e32 v52, 27, v52
	v_add_nc_u32_e32 v54, v68, v52
	ds_load_b64 v[52:53], v0
	v_lshlrev_b32_e32 v55, 10, v71
	v_and_b32_e32 v54, 0xffffffe0, v54
	s_delay_alu instid0(VALU_DEP_1) | instskip(NEXT) | instid1(VALU_DEP_1)
	v_sub_nc_u32_e32 v54, v68, v54
	v_add3_u32 v71, v27, v54, v55
	s_delay_alu instid0(VALU_DEP_1)
	v_ashrrev_i32_e32 v80, 31, v71
	s_waitcnt lgkmcnt(0)
	v_dual_mov_b32 v55, v53 :: v_dual_mov_b32 v54, v52
.LBB6_201:                              ;   Parent Loop BB6_65 Depth=1
                                        ;     Parent Loop BB6_101 Depth=2
                                        ;       Parent Loop BB6_103 Depth=3
                                        ; =>      This Inner Loop Header: Depth=4
	s_delay_alu instid0(VALU_DEP_1) | instskip(NEXT) | instid1(VALU_DEP_2)
	v_add_co_u32 v81, vcc_lo, v71, v54
	v_add_co_ci_u32_e32 v82, vcc_lo, v80, v55, vcc_lo
	v_sub_nc_u32_e32 v69, v69, v100
	s_clause 0x1f
	flat_load_u8 v83, v[81:82] slc dlc
	flat_load_u8 v84, v[81:82] offset:32 slc dlc
	flat_load_u8 v85, v[81:82] offset:64 slc dlc
	;; [unrolled: 1-line block ×31, first 2 shown]
	v_add_co_u32 v81, vcc_lo, v71, v52
	v_add_co_ci_u32_e32 v82, vcc_lo, v80, v53, vcc_lo
	v_add_co_u32 v54, vcc_lo, v54, v116
	v_add_co_ci_u32_e32 v55, vcc_lo, v55, v117, vcc_lo
	;; [unrolled: 2-line block ×3, first 2 shown]
	v_cmp_gt_i32_e32 vcc_lo, 1, v69
	s_waitcnt vmcnt(31) lgkmcnt(31)
	flat_store_b8 v[81:82], v83 glc slc dlc
	s_waitcnt vmcnt(30) lgkmcnt(31)
	flat_store_b8 v[81:82], v84 offset:32 glc slc dlc
	s_waitcnt vmcnt(29) lgkmcnt(31)
	flat_store_b8 v[81:82], v85 offset:64 glc slc dlc
	;; [unrolled: 2-line block ×31, first 2 shown]
	s_or_b32 s31, vcc_lo, s31
	s_delay_alu instid0(SALU_CYCLE_1)
	s_and_not1_b32 exec_lo, exec_lo, s31
	s_cbranch_execnz .LBB6_201
; %bb.202:                              ;   in Loop: Header=BB6_103 Depth=3
	s_or_b32 exec_lo, exec_lo, s31
.LBB6_203:                              ;   in Loop: Header=BB6_103 Depth=3
	s_delay_alu instid0(SALU_CYCLE_1) | instskip(SKIP_2) | instid1(VALU_DEP_1)
	s_or_b32 exec_lo, exec_lo, s11
	v_lshlrev_b32_e32 v52, 10, v70
	s_mov_b32 s31, exec_lo
	v_cmpx_ne_u32_e64 v65, v52
	s_cbranch_execz .LBB6_208
; %bb.204:                              ;   in Loop: Header=BB6_103 Depth=3
	v_ashrrev_i32_e32 v53, 31, v68
	v_lshlrev_b32_e32 v54, 5, v69
	s_delay_alu instid0(VALU_DEP_2) | instskip(NEXT) | instid1(VALU_DEP_1)
	v_lshrrev_b32_e32 v53, 27, v53
	v_add_nc_u32_e32 v53, v68, v53
	s_delay_alu instid0(VALU_DEP_1) | instskip(NEXT) | instid1(VALU_DEP_1)
	v_and_b32_e32 v53, 0xffffffe0, v53
	v_sub_nc_u32_e32 v53, v68, v53
	s_delay_alu instid0(VALU_DEP_1) | instskip(NEXT) | instid1(VALU_DEP_1)
	v_sub_nc_u32_e32 v53, v53, v54
	v_add_nc_u32_e32 v55, v52, v53
	s_delay_alu instid0(VALU_DEP_1) | instskip(NEXT) | instid1(VALU_DEP_1)
	v_sub_nc_u32_e32 v54, v65, v55
	v_cmp_lt_i32_e32 vcc_lo, 0, v54
	s_and_b32 exec_lo, exec_lo, vcc_lo
	s_cbranch_execz .LBB6_208
; %bb.205:                              ;   in Loop: Header=BB6_103 Depth=3
	s_cbranch_execnz .LBB6_879
; %bb.206:                              ;   in Loop: Header=BB6_103 Depth=3
	ds_load_b64 v[52:53], v0
	v_add_nc_u32_e32 v27, v55, v27
	s_mov_b32 s34, 0
	s_delay_alu instid0(VALU_DEP_1)
	v_ashrrev_i32_e32 v55, 31, v27
.LBB6_207:                              ;   Parent Loop BB6_65 Depth=1
                                        ;     Parent Loop BB6_101 Depth=2
                                        ;       Parent Loop BB6_103 Depth=3
                                        ; =>      This Inner Loop Header: Depth=4
	s_waitcnt lgkmcnt(0)
	v_add_co_u32 v68, vcc_lo, v52, v27
	s_delay_alu instid0(VALU_DEP_2)
	v_add_co_ci_u32_e32 v69, vcc_lo, v53, v55, vcc_lo
	v_sub_nc_u32_e32 v54, v54, v118
	v_add_co_u32 v27, s11, v27, v118
	flat_load_u8 v65, v[68:69] slc dlc
	v_add_co_ci_u32_e64 v55, s11, v55, v119, s11
	v_cmp_gt_i32_e32 vcc_lo, 1, v54
	s_or_b32 s34, vcc_lo, s34
	s_waitcnt vmcnt(0) lgkmcnt(0)
	flat_store_b8 v[68:69], v65 glc slc dlc
	s_and_not1_b32 exec_lo, exec_lo, s34
	s_cbranch_execnz .LBB6_207
.LBB6_208:                              ;   in Loop: Header=BB6_103 Depth=3
	s_or_b32 exec_lo, exec_lo, s31
.LBB6_209:                              ;   in Loop: Header=BB6_103 Depth=3
	s_delay_alu instid0(SALU_CYCLE_1)
	s_or_b32 exec_lo, exec_lo, s12
.LBB6_210:                              ;   in Loop: Header=BB6_103 Depth=3
	s_and_saveexec_b32 s11, s4
	s_cbranch_execz .LBB6_232
; %bb.211:                              ;   in Loop: Header=BB6_103 Depth=3
	s_and_saveexec_b32 s12, s5
	s_delay_alu instid0(SALU_CYCLE_1)
	s_xor_b32 s12, exec_lo, s12
	s_cbranch_execz .LBB6_229
; %bb.212:                              ;   in Loop: Header=BB6_103 Depth=3
	s_and_saveexec_b32 s31, s2
	s_cbranch_execz .LBB6_228
; %bb.213:                              ;   in Loop: Header=BB6_103 Depth=3
	s_mov_b32 s35, exec_lo
	s_mov_b32 s34, exec_lo
	v_mbcnt_lo_u32_b32 v27, s35, 0
	s_waitcnt lgkmcnt(0)
	s_waitcnt_vscnt null, 0x0
	buffer_gl1_inv
	buffer_gl0_inv
	v_cmpx_eq_u32_e32 0, v27
	s_cbranch_execz .LBB6_215
; %bb.214:                              ;   in Loop: Header=BB6_103 Depth=3
	s_bcnt1_i32_b32 vcc_lo, s35
	s_delay_alu instid0(SALU_CYCLE_1)
	v_dual_mov_b32 v53, v26 :: v_dual_mov_b32 v52, vcc_lo
	ds_add_u64 v0, v[52:53]
	s_cbranch_execnz .LBB6_873
.LBB6_215:                              ;   in Loop: Header=BB6_103 Depth=3
	s_or_b32 exec_lo, exec_lo, s34
	s_cbranch_execnz .LBB6_857
; %bb.216:                              ;   in Loop: Header=BB6_103 Depth=3
	ds_load_b64 v[52:53], v0
	v_add_co_u32 v10, vcc_lo, v10, v100
	v_add_co_ci_u32_e32 v11, vcc_lo, 0, v11, vcc_lo
	s_mov_b32 s34, exec_lo
	s_waitcnt lgkmcnt(0)
	s_delay_alu instid0(VALU_DEP_1)
	v_cmpx_lt_u64_e64 v[52:53], v[10:11]
	s_cbranch_execz .LBB6_227
; %bb.217:                              ;   in Loop: Header=BB6_103 Depth=3
	s_mov_b32 s35, 0
	s_mov_b32 s38, 0
                                        ; implicit-def: $sgpr36
                                        ; implicit-def: $sgpr37
	s_branch .LBB6_219
.LBB6_218:                              ;   in Loop: Header=BB6_219 Depth=4
	s_or_b32 exec_lo, exec_lo, s40
	s_delay_alu instid0(SALU_CYCLE_1) | instskip(NEXT) | instid1(SALU_CYCLE_1)
	s_and_b32 vcc_lo, exec_lo, vcc_lo
	s_or_b32 s35, vcc_lo, s35
	s_and_not1_b32 vcc_lo, s36, exec_lo
	s_and_b32 s36, s37, exec_lo
	s_delay_alu instid0(SALU_CYCLE_1)
	s_or_b32 s36, vcc_lo, s36
	s_and_not1_b32 exec_lo, exec_lo, s35
	s_cbranch_execz .LBB6_225
.LBB6_219:                              ;   Parent Loop BB6_65 Depth=1
                                        ;     Parent Loop BB6_101 Depth=2
                                        ;       Parent Loop BB6_103 Depth=3
                                        ; =>      This Inner Loop Header: Depth=4
	s_add_i32 s38, s38, 1
                                        ; implicit-def: $sgpr40
	s_delay_alu instid0(SALU_CYCLE_1) | instskip(SKIP_1) | instid1(SALU_CYCLE_1)
	s_cmpk_lg_i32 s38, 0x2710
	s_cselect_b32 s39, -1, 0
	s_and_b32 vcc_lo, exec_lo, s39
	s_cbranch_vccz .LBB6_223
.LBB6_220:                              ;   in Loop: Header=BB6_219 Depth=4
	s_and_not1_b32 s37, s37, exec_lo
	s_and_b32 s40, s40, exec_lo
	s_mov_b32 vcc_lo, -1
	s_or_b32 s37, s37, s40
	s_and_saveexec_b32 s40, s39
	s_cbranch_execz .LBB6_218
; %bb.221:                              ;   in Loop: Header=BB6_219 Depth=4
	s_sleep 1
	s_cbranch_execnz .LBB6_895
; %bb.222:                              ;   in Loop: Header=BB6_219 Depth=4
	ds_load_b64 v[52:53], v0
	s_and_not1_b32 s37, s37, exec_lo
	s_waitcnt lgkmcnt(0)
	v_cmp_ge_u64_e32 vcc_lo, v[52:53], v[10:11]
	s_or_not1_b32 vcc_lo, vcc_lo, exec_lo
	s_branch .LBB6_218
.LBB6_223:                              ;   in Loop: Header=BB6_219 Depth=4
	s_cbranch_execnz .LBB6_903
; %bb.224:                              ;   in Loop: Header=BB6_219 Depth=4
	ds_load_b64 v[52:53], v0
	s_and_not1_b32 s39, s39, exec_lo
	s_mov_b32 s38, 0
	s_mov_b32 s40, -1
	s_waitcnt lgkmcnt(0)
	flat_load_b32 v27, v[52:53] glc
	s_waitcnt vmcnt(0) lgkmcnt(0)
	buffer_gl1_inv
	buffer_gl0_inv
	v_cmp_eq_u32_e32 vcc_lo, 0, v27
	s_and_b32 vcc_lo, vcc_lo, exec_lo
	s_delay_alu instid0(SALU_CYCLE_1)
	s_or_b32 s39, s39, vcc_lo
	s_branch .LBB6_220
.LBB6_225:                              ;   in Loop: Header=BB6_103 Depth=3
	s_or_b32 exec_lo, exec_lo, s35
	s_and_saveexec_b32 vcc_lo, s36
	s_delay_alu instid0(SALU_CYCLE_1)
	s_xor_b32 vcc_lo, exec_lo, vcc_lo
	s_cbranch_execz .LBB6_227
; %bb.226:                              ;   in Loop: Header=BB6_103 Depth=3
	ds_store_b32 v0, v131
	s_cbranch_execnz .LBB6_967
.LBB6_227:                              ;   in Loop: Header=BB6_103 Depth=3
	s_or_b32 exec_lo, exec_lo, s34
	;;#ASMSTART
	s_wakeup
	;;#ASMEND
.LBB6_228:                              ;   in Loop: Header=BB6_103 Depth=3
	s_or_b32 exec_lo, exec_lo, s31
.LBB6_229:                              ;   in Loop: Header=BB6_103 Depth=3
	s_and_not1_saveexec_b32 s12, s12
	s_cbranch_execz .LBB6_231
; %bb.230:                              ;   in Loop: Header=BB6_103 Depth=3
	s_waitcnt lgkmcnt(0)
	s_waitcnt_vscnt null, 0x0
	buffer_gl1_inv
	buffer_gl0_inv
	s_barrier
.LBB6_231:                              ;   in Loop: Header=BB6_103 Depth=3
	s_or_b32 exec_lo, exec_lo, s12
.LBB6_232:                              ;   in Loop: Header=BB6_103 Depth=3
	s_delay_alu instid0(SALU_CYCLE_1) | instskip(SKIP_2) | instid1(VALU_DEP_2)
	s_or_b32 exec_lo, exec_lo, s11
	v_and_b32_e32 v27, 16, v97
	v_cmp_lt_i32_e32 vcc_lo, 0, v9
	v_cmp_ne_u32_e64 s11, 0, v27
	s_delay_alu instid0(VALU_DEP_1) | instskip(NEXT) | instid1(SALU_CYCLE_1)
	s_and_b32 s12, s11, vcc_lo
	s_and_saveexec_b32 s11, s12
	s_cbranch_execz .LBB6_234
; %bb.233:                              ;   in Loop: Header=BB6_103 Depth=3
	s_waitcnt lgkmcnt(0)
	s_waitcnt_vscnt null, 0x0
	buffer_gl1_inv
	buffer_gl0_inv
.LBB6_234:                              ;   in Loop: Header=BB6_103 Depth=3
	s_or_b32 exec_lo, exec_lo, s11
	s_delay_alu instid0(SALU_CYCLE_1)
	s_mov_b32 s11, exec_lo
	v_cmpx_ne_u32_e32 0, v27
	s_cbranch_execz .LBB6_238
; %bb.235:                              ;   in Loop: Header=BB6_103 Depth=3
	s_and_saveexec_b32 s12, s10
	s_cbranch_execz .LBB6_237
; %bb.236:                              ;   in Loop: Header=BB6_103 Depth=3
	s_waitcnt lgkmcnt(0)
	s_waitcnt_vscnt null, 0x0
	flat_store_b32 v[24:25], v131
.LBB6_237:                              ;   in Loop: Header=BB6_103 Depth=3
	s_or_b32 exec_lo, exec_lo, s12
	v_add_co_u32 v18, vcc_lo, v18, 2
	v_add_co_ci_u32_e32 v19, vcc_lo, 0, v19, vcc_lo
	s_waitcnt lgkmcnt(0)
	s_waitcnt_vscnt null, 0x0
	flat_store_b64 v[16:17], v[18:19]
.LBB6_238:                              ;   in Loop: Header=BB6_103 Depth=3
	s_or_b32 exec_lo, exec_lo, s11
	v_dual_mov_b32 v9, s30 :: v_dual_add_nc_u32 v64, v8, v64
	s_mov_b32 s30, 2
	s_delay_alu instid0(VALU_DEP_1) | instskip(SKIP_3) | instid1(SALU_CYCLE_1)
	v_cmp_ge_i32_e32 vcc_lo, v64, v66
	s_xor_b32 s11, vcc_hi, -1
	s_mov_b32 vcc_hi, 0
	s_or_b32 s11, s11, vcc_lo
	s_and_b32 s11, exec_lo, s11
	s_delay_alu instid0(SALU_CYCLE_1) | instskip(NEXT) | instid1(SALU_CYCLE_1)
	s_or_b32 s29, s11, s29
	s_and_not1_b32 exec_lo, exec_lo, s29
	s_cbranch_execnz .LBB6_103
; %bb.239:                              ;   in Loop: Header=BB6_101 Depth=2
	s_or_b32 exec_lo, exec_lo, s29
.LBB6_240:                              ;   in Loop: Header=BB6_101 Depth=2
	s_delay_alu instid0(SALU_CYCLE_1) | instskip(NEXT) | instid1(SALU_CYCLE_1)
	s_or_b32 exec_lo, exec_lo, s28
	s_mov_b32 s12, exec_lo
	v_cmpx_gt_i32_e32 2, v9
	s_cbranch_execz .LBB6_297
; %bb.241:                              ;   in Loop: Header=BB6_101 Depth=2
	v_cmp_eq_u32_e64 s11, 0, v9
	s_mov_b32 s28, 0
.LBB6_242:                              ;   Parent Loop BB6_65 Depth=1
                                        ;     Parent Loop BB6_101 Depth=2
                                        ; =>    This Loop Header: Depth=3
                                        ;         Child Loop BB6_248 Depth 4
                                        ;         Child Loop BB6_275 Depth 4
	v_and_b32_e32 v9, 8, v97
	s_mov_b32 vcc_hi, -1
	s_mov_b32 s29, exec_lo
	s_delay_alu instid0(VALU_DEP_1)
	v_cmpx_ne_u32_e32 0, v9
	s_cbranch_execz .LBB6_256
; %bb.243:                              ;   in Loop: Header=BB6_242 Depth=3
	v_add_co_u32 v54, vcc_lo, v22, 8
	v_add_co_ci_u32_e32 v55, vcc_lo, 0, v23, vcc_lo
	v_add_co_u32 v52, vcc_lo, v18, 2
	v_add_co_ci_u32_e32 v53, vcc_lo, 0, v19, vcc_lo
	v_mov_b32_e32 v9, 1
	s_mov_b32 vcc_hi, exec_lo
	s_delay_alu instid0(VALU_DEP_2)
	v_cmpx_lt_u64_e64 v[54:55], v[52:53]
	s_cbranch_execz .LBB6_255
; %bb.244:                              ;   in Loop: Header=BB6_242 Depth=3
	v_mov_b32_e32 v9, 0
	s_mov_b32 s30, 0
                                        ; implicit-def: $sgpr31
	s_branch .LBB6_248
.LBB6_245:                              ;   in Loop: Header=BB6_248 Depth=4
	s_or_b32 exec_lo, exec_lo, s37
	v_mov_b32_e32 v27, 0
	s_or_not1_b32 s36, s36, exec_lo
.LBB6_246:                              ;   in Loop: Header=BB6_248 Depth=4
	s_or_b32 exec_lo, exec_lo, s35
	s_delay_alu instid0(VALU_DEP_1) | instskip(SKIP_2) | instid1(SALU_CYCLE_1)
	v_mov_b32_e32 v9, v27
	s_and_not1_b32 vcc_lo, s31, exec_lo
	s_and_b32 s31, s36, exec_lo
	s_or_b32 s31, vcc_lo, s31
.LBB6_247:                              ;   in Loop: Header=BB6_248 Depth=4
	s_or_b32 exec_lo, exec_lo, s34
	s_waitcnt vmcnt(0) lgkmcnt(0)
	v_add_co_u32 v54, vcc_lo, v22, 8
	v_add_co_ci_u32_e32 v55, vcc_lo, 0, v23, vcc_lo
	s_xor_b32 s34, s31, -1
	s_delay_alu instid0(VALU_DEP_1) | instskip(SKIP_1) | instid1(SALU_CYCLE_1)
	v_cmp_ge_u64_e32 vcc_lo, v[54:55], v[52:53]
	s_or_b32 vcc_lo, s34, vcc_lo
	s_and_b32 vcc_lo, exec_lo, vcc_lo
	s_delay_alu instid0(SALU_CYCLE_1) | instskip(NEXT) | instid1(SALU_CYCLE_1)
	s_or_b32 s30, vcc_lo, s30
	s_and_not1_b32 exec_lo, exec_lo, s30
	s_cbranch_execz .LBB6_254
.LBB6_248:                              ;   Parent Loop BB6_65 Depth=1
                                        ;     Parent Loop BB6_101 Depth=2
                                        ;       Parent Loop BB6_242 Depth=3
                                        ; =>      This Inner Loop Header: Depth=4
	s_sleep 1
	flat_load_b64 v[22:23], v[16:17] glc
	v_and_b32_e32 v27, 64, v97
	s_and_not1_b32 s31, s31, exec_lo
	s_mov_b32 s34, exec_lo
	s_delay_alu instid0(VALU_DEP_1)
	v_cmpx_eq_u32_e32 0, v27
	s_cbranch_execz .LBB6_247
; %bb.249:                              ;   in Loop: Header=BB6_248 Depth=4
	v_add_nc_u32_e32 v27, 1, v9
	s_mov_b32 s36, -1
	s_mov_b32 s35, exec_lo
	v_cmpx_lt_i32_e32 0x270e, v9
	s_cbranch_execz .LBB6_246
; %bb.250:                              ;   in Loop: Header=BB6_248 Depth=4
	s_cbranch_execnz .LBB6_783
; %bb.251:                              ;   in Loop: Header=BB6_248 Depth=4
	ds_load_b64 v[54:55], v0
	s_mov_b32 s37, exec_lo
	s_waitcnt vmcnt(0) lgkmcnt(0)
	s_waitcnt_vscnt null, 0x0
	flat_load_b32 v9, v[54:55] glc
	s_waitcnt vmcnt(0) lgkmcnt(0)
	buffer_gl1_inv
	buffer_gl0_inv
	v_cmpx_ne_u32_e32 0, v9
	s_cbranch_execz .LBB6_245
; %bb.252:                              ;   in Loop: Header=BB6_248 Depth=4
	ds_store_b32 v0, v9
	s_cbranch_execnz .LBB6_801
; %bb.253:                              ;   in Loop: Header=BB6_248 Depth=4
	v_or_b32_e32 v97, 64, v97
	s_xor_b32 s36, exec_lo, -1
	s_branch .LBB6_245
.LBB6_254:                              ;   in Loop: Header=BB6_242 Depth=3
	s_or_b32 exec_lo, exec_lo, s30
	v_and_b32_e32 v9, 8, v97
.LBB6_255:                              ;   in Loop: Header=BB6_242 Depth=3
	s_or_b32 exec_lo, exec_lo, vcc_hi
	s_delay_alu instid0(VALU_DEP_1)
	v_cmp_eq_u32_e32 vcc_lo, 0, v9
	;;#ASMSTART
	s_wakeup
	;;#ASMEND
	s_or_not1_b32 vcc_hi, vcc_lo, exec_lo
.LBB6_256:                              ;   in Loop: Header=BB6_242 Depth=3
	s_or_b32 exec_lo, exec_lo, s29
	v_sub_nc_u32_e32 v9, v66, v64
	s_xor_b32 s11, s11, -1
	s_delay_alu instid0(SALU_CYCLE_1) | instskip(NEXT) | instid1(SALU_CYCLE_1)
	s_and_b32 s11, exec_lo, s11
	s_or_b32 s28, s11, s28
	s_delay_alu instid0(VALU_DEP_1) | instskip(SKIP_1) | instid1(SALU_CYCLE_1)
	v_min_i32_e32 v8, v8, v9
	s_xor_b32 s11, vcc_hi, -1
	s_and_saveexec_b32 s29, s11
	s_cbranch_execz .LBB6_266
; %bb.257:                              ;   in Loop: Header=BB6_242 Depth=3
	v_and_b32_e32 v9, 0x100, v97
	v_and_b32_e32 v27, 7, v18
	s_mov_b32 s11, -1
	s_mov_b32 vcc_hi, exec_lo
                                        ; implicit-def: $vgpr52_vgpr53
	s_delay_alu instid0(VALU_DEP_2)
	v_cmpx_ne_u32_e32 0, v9
	s_cbranch_execz .LBB6_261
; %bb.258:                              ;   in Loop: Header=BB6_242 Depth=3
	v_mad_u64_u32 v[54:55], null, v27, 24, v[4:5]
	v_ashrrev_i32_e32 v9, 31, v8
	flat_load_b32 v52, v[54:55]
	flat_store_b64 v[54:55], v[8:9] offset:8
	s_waitcnt vmcnt(0) lgkmcnt(1)
	v_cmp_ne_u32_e32 vcc_lo, 1, v52
	v_cmp_eq_u32_e64 s11, 1, v52
                                        ; implicit-def: $vgpr52_vgpr53
	s_delay_alu instid0(VALU_DEP_1)
	s_and_saveexec_b32 s30, s11
	s_cbranch_execz .LBB6_260
; %bb.259:                              ;   in Loop: Header=BB6_242 Depth=3
	flat_load_b32 v52, v[54:55] offset:4 glc
	s_waitcnt vmcnt(0) lgkmcnt(0)
	v_ashrrev_i32_e32 v53, 31, v52
.LBB6_260:                              ;   in Loop: Header=BB6_242 Depth=3
	s_or_b32 exec_lo, exec_lo, s30
	s_delay_alu instid0(SALU_CYCLE_1)
	s_or_not1_b32 s11, vcc_lo, exec_lo
.LBB6_261:                              ;   in Loop: Header=BB6_242 Depth=3
	s_or_b32 exec_lo, exec_lo, vcc_hi
	s_and_saveexec_b32 vcc_lo, s11
; %bb.262:                              ;   in Loop: Header=BB6_242 Depth=3
	v_mad_i64_i32 v[52:53], null, v27, v98, 0
; %bb.263:                              ;   in Loop: Header=BB6_242 Depth=3
	s_or_b32 exec_lo, exec_lo, vcc_lo
	s_delay_alu instid0(VALU_DEP_1) | instskip(SKIP_1) | instid1(VALU_DEP_3)
	v_add_co_u32 v52, vcc_lo, v20, v52
	v_and_b32_e32 v9, 0x2000, v97
	v_add_co_ci_u32_e32 v53, vcc_lo, v21, v53, vcc_lo
	s_mov_b32 s11, exec_lo
	ds_store_b64 v0, v[52:53] offset:784
	v_cmpx_ne_u32_e32 0, v9
	s_cbranch_execz .LBB6_265
; %bb.264:                              ;   in Loop: Header=BB6_242 Depth=3
	ds_load_b64 v[52:53], v0 offset:584
	s_waitcnt lgkmcnt(0)
	v_add_co_u32 v52, vcc_lo, v52, 1
	v_add_co_ci_u32_e32 v53, vcc_lo, 0, v53, vcc_lo
	ds_store_b64 v0, v[52:53] offset:584
.LBB6_265:                              ;   in Loop: Header=BB6_242 Depth=3
	s_or_b32 exec_lo, exec_lo, s11
	v_add_co_u32 v18, vcc_lo, v18, 2
	v_add_co_ci_u32_e32 v19, vcc_lo, 0, v19, vcc_lo
.LBB6_266:                              ;   in Loop: Header=BB6_242 Depth=3
	s_or_b32 exec_lo, exec_lo, s29
	s_and_saveexec_b32 s11, s4
	s_cbranch_execz .LBB6_288
; %bb.267:                              ;   in Loop: Header=BB6_242 Depth=3
	s_and_saveexec_b32 s29, s5
	s_delay_alu instid0(SALU_CYCLE_1)
	s_xor_b32 s29, exec_lo, s29
	s_cbranch_execz .LBB6_285
; %bb.268:                              ;   in Loop: Header=BB6_242 Depth=3
	s_and_saveexec_b32 vcc_hi, s2
	s_cbranch_execz .LBB6_284
; %bb.269:                              ;   in Loop: Header=BB6_242 Depth=3
	s_mov_b32 s31, exec_lo
	s_mov_b32 s30, exec_lo
	v_mbcnt_lo_u32_b32 v9, s31, 0
	s_waitcnt lgkmcnt(0)
	s_waitcnt_vscnt null, 0x0
	buffer_gl1_inv
	buffer_gl0_inv
	v_cmpx_eq_u32_e32 0, v9
	s_cbranch_execz .LBB6_271
; %bb.270:                              ;   in Loop: Header=BB6_242 Depth=3
	s_bcnt1_i32_b32 vcc_lo, s31
	s_delay_alu instid0(SALU_CYCLE_1)
	v_dual_mov_b32 v53, v26 :: v_dual_mov_b32 v52, vcc_lo
	ds_add_u64 v0, v[52:53]
	s_cbranch_execnz .LBB6_819
.LBB6_271:                              ;   in Loop: Header=BB6_242 Depth=3
	s_or_b32 exec_lo, exec_lo, s30
	s_cbranch_execnz .LBB6_807
; %bb.272:                              ;   in Loop: Header=BB6_242 Depth=3
	ds_load_b64 v[52:53], v0
	v_add_co_u32 v10, vcc_lo, v10, v100
	v_add_co_ci_u32_e32 v11, vcc_lo, 0, v11, vcc_lo
	s_mov_b32 s30, exec_lo
	s_waitcnt lgkmcnt(0)
	s_delay_alu instid0(VALU_DEP_1)
	v_cmpx_lt_u64_e64 v[52:53], v[10:11]
	s_cbranch_execz .LBB6_283
; %bb.273:                              ;   in Loop: Header=BB6_242 Depth=3
	s_mov_b32 s31, 0
	s_mov_b32 s36, 0
                                        ; implicit-def: $sgpr34
                                        ; implicit-def: $sgpr35
	s_branch .LBB6_275
.LBB6_274:                              ;   in Loop: Header=BB6_275 Depth=4
	s_or_b32 exec_lo, exec_lo, s38
	s_delay_alu instid0(SALU_CYCLE_1) | instskip(NEXT) | instid1(SALU_CYCLE_1)
	s_and_b32 vcc_lo, exec_lo, vcc_lo
	s_or_b32 s31, vcc_lo, s31
	s_and_not1_b32 vcc_lo, s34, exec_lo
	s_and_b32 s34, s35, exec_lo
	s_delay_alu instid0(SALU_CYCLE_1)
	s_or_b32 s34, vcc_lo, s34
	s_and_not1_b32 exec_lo, exec_lo, s31
	s_cbranch_execz .LBB6_281
.LBB6_275:                              ;   Parent Loop BB6_65 Depth=1
                                        ;     Parent Loop BB6_101 Depth=2
                                        ;       Parent Loop BB6_242 Depth=3
                                        ; =>      This Inner Loop Header: Depth=4
	s_add_i32 s36, s36, 1
                                        ; implicit-def: $sgpr38
	s_delay_alu instid0(SALU_CYCLE_1) | instskip(SKIP_1) | instid1(SALU_CYCLE_1)
	s_cmpk_lg_i32 s36, 0x2710
	s_cselect_b32 s37, -1, 0
	s_and_b32 vcc_lo, exec_lo, s37
	s_cbranch_vccz .LBB6_279
.LBB6_276:                              ;   in Loop: Header=BB6_275 Depth=4
	s_and_not1_b32 s35, s35, exec_lo
	s_and_b32 s38, s38, exec_lo
	s_mov_b32 vcc_lo, -1
	s_or_b32 s35, s35, s38
	s_and_saveexec_b32 s38, s37
	s_cbranch_execz .LBB6_274
; %bb.277:                              ;   in Loop: Header=BB6_275 Depth=4
	s_sleep 1
	s_cbranch_execnz .LBB6_835
; %bb.278:                              ;   in Loop: Header=BB6_275 Depth=4
	ds_load_b64 v[52:53], v0
	s_and_not1_b32 s35, s35, exec_lo
	s_waitcnt lgkmcnt(0)
	v_cmp_ge_u64_e32 vcc_lo, v[52:53], v[10:11]
	s_or_not1_b32 vcc_lo, vcc_lo, exec_lo
	s_branch .LBB6_274
.LBB6_279:                              ;   in Loop: Header=BB6_275 Depth=4
	s_cbranch_execnz .LBB6_843
; %bb.280:                              ;   in Loop: Header=BB6_275 Depth=4
	ds_load_b64 v[52:53], v0
	s_and_not1_b32 s37, s37, exec_lo
	s_mov_b32 s36, 0
	s_mov_b32 s38, -1
	s_waitcnt lgkmcnt(0)
	flat_load_b32 v9, v[52:53] glc
	s_waitcnt vmcnt(0) lgkmcnt(0)
	buffer_gl1_inv
	buffer_gl0_inv
	v_cmp_eq_u32_e32 vcc_lo, 0, v9
	s_and_b32 vcc_lo, vcc_lo, exec_lo
	s_delay_alu instid0(SALU_CYCLE_1)
	s_or_b32 s37, s37, vcc_lo
	s_branch .LBB6_276
.LBB6_281:                              ;   in Loop: Header=BB6_242 Depth=3
	s_or_b32 exec_lo, exec_lo, s31
	s_and_saveexec_b32 vcc_lo, s34
	s_delay_alu instid0(SALU_CYCLE_1)
	s_xor_b32 vcc_lo, exec_lo, vcc_lo
	s_cbranch_execz .LBB6_283
; %bb.282:                              ;   in Loop: Header=BB6_242 Depth=3
	ds_store_b32 v0, v131
	s_cbranch_execnz .LBB6_957
.LBB6_283:                              ;   in Loop: Header=BB6_242 Depth=3
	s_or_b32 exec_lo, exec_lo, s30
	;;#ASMSTART
	s_wakeup
	;;#ASMEND
.LBB6_284:                              ;   in Loop: Header=BB6_242 Depth=3
	s_or_b32 exec_lo, exec_lo, vcc_hi
.LBB6_285:                              ;   in Loop: Header=BB6_242 Depth=3
	s_and_not1_saveexec_b32 s29, s29
	s_cbranch_execz .LBB6_287
; %bb.286:                              ;   in Loop: Header=BB6_242 Depth=3
	s_waitcnt lgkmcnt(0)
	s_waitcnt_vscnt null, 0x0
	buffer_gl1_inv
	buffer_gl0_inv
	s_barrier
.LBB6_287:                              ;   in Loop: Header=BB6_242 Depth=3
	s_or_b32 exec_lo, exec_lo, s29
.LBB6_288:                              ;   in Loop: Header=BB6_242 Depth=3
	s_delay_alu instid0(SALU_CYCLE_1)
	s_or_b32 exec_lo, exec_lo, s11
	s_cbranch_execnz .LBB6_766
; %bb.289:                              ;   in Loop: Header=BB6_242 Depth=3
	ds_load_b32 v9, v0
	v_cmp_lt_i32_e32 vcc_lo, 0, v8
	s_waitcnt lgkmcnt(0)
	v_readfirstlane_b32 s11, v9
	v_and_b32_e32 v9, 16, v97
	s_delay_alu instid0(VALU_DEP_2) | instskip(NEXT) | instid1(VALU_DEP_1)
	s_cmp_eq_u32 s11, 0
	v_cmp_ne_u32_e64 s11, 0, v9
	s_cselect_b32 s29, -1, 0
	s_delay_alu instid0(SALU_CYCLE_1)
	s_and_b32 s29, vcc_lo, s29
	s_delay_alu instid0(VALU_DEP_1) | instid1(SALU_CYCLE_1)
	s_and_b32 s29, s11, s29
	s_delay_alu instid0(SALU_CYCLE_1)
	s_and_saveexec_b32 s11, s29
	s_cbranch_execz .LBB6_291
; %bb.290:                              ;   in Loop: Header=BB6_242 Depth=3
	s_waitcnt_vscnt null, 0x0
	buffer_gl1_inv
	buffer_gl0_inv
.LBB6_291:                              ;   in Loop: Header=BB6_242 Depth=3
	s_or_b32 exec_lo, exec_lo, s11
	s_delay_alu instid0(SALU_CYCLE_1)
	s_mov_b32 s11, exec_lo
	v_cmpx_ne_u32_e32 0, v9
	s_cbranch_execz .LBB6_295
; %bb.292:                              ;   in Loop: Header=BB6_242 Depth=3
	s_and_saveexec_b32 s29, s10
	s_cbranch_execz .LBB6_294
; %bb.293:                              ;   in Loop: Header=BB6_242 Depth=3
	s_waitcnt_vscnt null, 0x0
	flat_store_b32 v[24:25], v131
.LBB6_294:                              ;   in Loop: Header=BB6_242 Depth=3
	s_or_b32 exec_lo, exec_lo, s29
	v_add_co_u32 v18, vcc_lo, v18, 2
	v_add_co_ci_u32_e32 v19, vcc_lo, 0, v19, vcc_lo
	s_waitcnt lgkmcnt(0)
	s_waitcnt_vscnt null, 0x0
	flat_store_b64 v[16:17], v[18:19]
.LBB6_295:                              ;   in Loop: Header=BB6_242 Depth=3
	s_or_b32 exec_lo, exec_lo, s11
	v_add_nc_u32_e32 v64, v8, v64
	s_mov_b32 s11, 0
	s_and_not1_b32 exec_lo, exec_lo, s28
	s_cbranch_execnz .LBB6_242
; %bb.296:                              ;   in Loop: Header=BB6_101 Depth=2
	s_or_b32 exec_lo, exec_lo, s28
.LBB6_297:                              ;   in Loop: Header=BB6_101 Depth=2
	s_delay_alu instid0(SALU_CYCLE_1) | instskip(NEXT) | instid1(SALU_CYCLE_1)
	s_or_b32 exec_lo, exec_lo, s12
	s_and_not1_b32 vcc_lo, exec_lo, s26
	s_cbranch_vccnz .LBB6_505
; %bb.298:                              ;   in Loop: Header=BB6_101 Depth=2
	s_mov_b32 s28, 0
.LBB6_299:                              ;   Parent Loop BB6_65 Depth=1
                                        ;     Parent Loop BB6_101 Depth=2
                                        ; =>    This Loop Header: Depth=3
                                        ;         Child Loop BB6_301 Depth 4
                                        ;           Child Loop BB6_309 Depth 5
                                        ;           Child Loop BB6_341 Depth 5
	;; [unrolled: 1-line block ×8, first 2 shown]
                                        ;         Child Loop BB6_444 Depth 4
                                        ;           Child Loop BB6_450 Depth 5
                                        ;           Child Loop BB6_482 Depth 5
	v_dual_mov_b32 v9, 0 :: v_dual_mov_b32 v8, v67
	v_mov_b32_e32 v68, 0
	s_and_saveexec_b32 s29, s27
	s_cbranch_execz .LBB6_442
; %bb.300:                              ;   in Loop: Header=BB6_299 Depth=3
	v_mov_b32_e32 v68, 0
	v_mov_b32_e32 v8, v67
	s_mov_b32 s31, 1
	s_mov_b32 s30, -1
	s_mov_b32 vcc_hi, 0
.LBB6_301:                              ;   Parent Loop BB6_65 Depth=1
                                        ;     Parent Loop BB6_101 Depth=2
                                        ;       Parent Loop BB6_299 Depth=3
                                        ; =>      This Loop Header: Depth=4
                                        ;           Child Loop BB6_309 Depth 5
                                        ;           Child Loop BB6_341 Depth 5
                                        ;           Child Loop BB6_364 Depth 5
                                        ;           Child Loop BB6_387 Depth 5
                                        ;           Child Loop BB6_393 Depth 5
                                        ;           Child Loop BB6_403 Depth 5
                                        ;           Child Loop BB6_409 Depth 5
                                        ;           Child Loop BB6_421 Depth 5
	s_and_saveexec_b32 s11, s0
	s_cbranch_execz .LBB6_303
; %bb.302:                              ;   in Loop: Header=BB6_301 Depth=4
	v_mov_b32_e32 v27, v26
	ds_store_b64 v0, v[26:27]
	s_cbranch_execnz .LBB6_789
.LBB6_303:                              ;   in Loop: Header=BB6_301 Depth=4
	s_or_b32 exec_lo, exec_lo, s11
	v_and_b32_e32 v9, 12, v97
	s_mov_b32 s12, -1
	s_mov_b32 s11, exec_lo
	s_delay_alu instid0(VALU_DEP_1)
	v_cmpx_ne_u32_e32 0, v9
	s_cbranch_execz .LBB6_317
; %bb.304:                              ;   in Loop: Header=BB6_301 Depth=4
	v_and_b32_e32 v9, 8, v97
	v_mov_b32_e32 v27, 1
	s_mov_b32 s12, exec_lo
	s_delay_alu instid0(VALU_DEP_2) | instskip(SKIP_3) | instid1(VALU_DEP_1)
	v_add_co_u32 v54, vcc_lo, v22, v9
	v_add_co_ci_u32_e32 v55, vcc_lo, 0, v23, vcc_lo
	v_add_co_u32 v52, vcc_lo, v18, 2
	v_add_co_ci_u32_e32 v53, vcc_lo, 0, v19, vcc_lo
	v_cmpx_lt_u64_e64 v[54:55], v[52:53]
	s_cbranch_execz .LBB6_316
; %bb.305:                              ;   in Loop: Header=BB6_301 Depth=4
	v_mov_b32_e32 v27, 0
	s_mov_b32 s34, 0
                                        ; implicit-def: $sgpr35
	s_branch .LBB6_309
.LBB6_306:                              ;   in Loop: Header=BB6_309 Depth=5
	s_or_b32 exec_lo, exec_lo, s39
	v_mov_b32_e32 v54, 0
	s_or_not1_b32 s38, s38, exec_lo
.LBB6_307:                              ;   in Loop: Header=BB6_309 Depth=5
	s_or_b32 exec_lo, exec_lo, s37
	s_delay_alu instid0(VALU_DEP_1) | instskip(SKIP_2) | instid1(SALU_CYCLE_1)
	v_mov_b32_e32 v27, v54
	s_and_not1_b32 vcc_lo, s35, exec_lo
	s_and_b32 s35, s38, exec_lo
	s_or_b32 s35, vcc_lo, s35
.LBB6_308:                              ;   in Loop: Header=BB6_309 Depth=5
	s_or_b32 exec_lo, exec_lo, s36
	s_waitcnt vmcnt(0) lgkmcnt(0)
	v_add_co_u32 v54, vcc_lo, v22, v9
	v_add_co_ci_u32_e32 v55, vcc_lo, 0, v23, vcc_lo
	s_xor_b32 s36, s35, -1
	s_delay_alu instid0(VALU_DEP_1) | instskip(SKIP_1) | instid1(SALU_CYCLE_1)
	v_cmp_ge_u64_e32 vcc_lo, v[54:55], v[52:53]
	s_or_b32 vcc_lo, s36, vcc_lo
	s_and_b32 vcc_lo, exec_lo, vcc_lo
	s_delay_alu instid0(SALU_CYCLE_1) | instskip(NEXT) | instid1(SALU_CYCLE_1)
	s_or_b32 s34, vcc_lo, s34
	s_and_not1_b32 exec_lo, exec_lo, s34
	s_cbranch_execz .LBB6_315
.LBB6_309:                              ;   Parent Loop BB6_65 Depth=1
                                        ;     Parent Loop BB6_101 Depth=2
                                        ;       Parent Loop BB6_299 Depth=3
                                        ;         Parent Loop BB6_301 Depth=4
                                        ; =>        This Inner Loop Header: Depth=5
	s_sleep 1
	flat_load_b64 v[22:23], v[16:17] glc
	v_and_b32_e32 v54, 64, v97
	s_and_not1_b32 s35, s35, exec_lo
	s_mov_b32 s36, exec_lo
	s_delay_alu instid0(VALU_DEP_1)
	v_cmpx_eq_u32_e32 0, v54
	s_cbranch_execz .LBB6_308
; %bb.310:                              ;   in Loop: Header=BB6_309 Depth=5
	v_add_nc_u32_e32 v54, 1, v27
	s_mov_b32 s38, -1
	s_mov_b32 s37, exec_lo
	v_cmpx_lt_i32_e32 0x270e, v27
	s_cbranch_execz .LBB6_307
; %bb.311:                              ;   in Loop: Header=BB6_309 Depth=5
	s_cbranch_execnz .LBB6_811
; %bb.312:                              ;   in Loop: Header=BB6_309 Depth=5
	ds_load_b64 v[54:55], v0
	s_mov_b32 s39, exec_lo
	s_waitcnt vmcnt(0) lgkmcnt(0)
	s_waitcnt_vscnt null, 0x0
	flat_load_b32 v27, v[54:55] glc
	s_waitcnt vmcnt(0) lgkmcnt(0)
	buffer_gl1_inv
	buffer_gl0_inv
	v_cmpx_ne_u32_e32 0, v27
	s_cbranch_execz .LBB6_306
; %bb.313:                              ;   in Loop: Header=BB6_309 Depth=5
	ds_store_b32 v0, v27
	s_cbranch_execnz .LBB6_845
; %bb.314:                              ;   in Loop: Header=BB6_309 Depth=5
	v_or_b32_e32 v97, 64, v97
	s_xor_b32 s38, exec_lo, -1
	s_branch .LBB6_306
.LBB6_315:                              ;   in Loop: Header=BB6_301 Depth=4
	s_or_b32 exec_lo, exec_lo, s34
	v_and_b32_e32 v27, 12, v97
.LBB6_316:                              ;   in Loop: Header=BB6_301 Depth=4
	s_or_b32 exec_lo, exec_lo, s12
	s_delay_alu instid0(VALU_DEP_1)
	v_cmp_eq_u32_e32 vcc_lo, 0, v27
	;;#ASMSTART
	s_wakeup
	;;#ASMEND
	s_or_not1_b32 s12, vcc_lo, exec_lo
.LBB6_317:                              ;   in Loop: Header=BB6_301 Depth=4
	s_or_b32 exec_lo, exec_lo, s11
	v_sub_nc_u32_e32 v9, v66, v68
	s_xor_b32 s11, s12, -1
	s_delay_alu instid0(VALU_DEP_1)
	v_min_i32_e32 v8, v8, v9
	s_and_saveexec_b32 s12, s11
	s_cbranch_execz .LBB6_332
; %bb.318:                              ;   in Loop: Header=BB6_301 Depth=4
	v_and_b32_e32 v9, 0x108, v97
	s_mov_b32 s11, exec_lo
                                        ; implicit-def: $vgpr52_vgpr53
	s_delay_alu instid0(VALU_DEP_1)
	v_cmpx_ne_u32_e32 0x108, v9
	s_xor_b32 s11, exec_lo, s11
; %bb.319:                              ;   in Loop: Header=BB6_301 Depth=4
	v_dual_mov_b32 v53, v26 :: v_dual_and_b32 v52, 7, v18
; %bb.320:                              ;   in Loop: Header=BB6_301 Depth=4
	s_and_not1_saveexec_b32 s11, s11
	s_cbranch_execz .LBB6_322
; %bb.321:                              ;   in Loop: Header=BB6_301 Depth=4
	v_dual_mov_b32 v53, v26 :: v_dual_and_b32 v52, 7, v18
	v_ashrrev_i32_e32 v9, 31, v8
	s_delay_alu instid0(VALU_DEP_2)
	v_mad_u64_u32 v[54:55], null, v52, 24, v[4:5]
	flat_store_b64 v[54:55], v[8:9] offset:8
.LBB6_322:                              ;   in Loop: Header=BB6_301 Depth=4
	s_or_b32 exec_lo, exec_lo, s11
	v_and_b32_e32 v9, 0x100, v97
	s_mov_b32 s11, -1
	s_mov_b32 s34, exec_lo
                                        ; implicit-def: $vgpr54_vgpr55
	s_delay_alu instid0(VALU_DEP_1)
	v_cmpx_ne_u32_e32 0, v9
	s_cbranch_execnz .LBB6_325
; %bb.323:                              ;   in Loop: Header=BB6_301 Depth=4
	s_or_b32 exec_lo, exec_lo, s34
	s_and_saveexec_b32 vcc_lo, s11
	s_cbranch_execnz .LBB6_328
.LBB6_324:                              ;   in Loop: Header=BB6_301 Depth=4
	s_or_b32 exec_lo, exec_lo, vcc_lo
	s_cbranch_execnz .LBB6_809
	s_branch .LBB6_329
.LBB6_325:                              ;   in Loop: Header=BB6_301 Depth=4
	v_mad_u64_u32 v[64:65], null, v52, 24, v[4:5]
	s_mov_b32 s35, exec_lo
	s_delay_alu instid0(VALU_DEP_1) | instskip(NEXT) | instid1(VALU_DEP_1)
	v_mov_b32_e32 v9, v65
	v_mad_u64_u32 v[54:55], null, v53, 24, v[9:10]
	s_delay_alu instid0(VALU_DEP_1)
	v_mov_b32_e32 v65, v54
                                        ; implicit-def: $vgpr54_vgpr55
	flat_load_b32 v9, v[64:65]
	s_waitcnt vmcnt(0) lgkmcnt(0)
	v_cmp_ne_u32_e32 vcc_lo, 1, v9
	v_cmpx_eq_u32_e32 1, v9
	s_cbranch_execz .LBB6_327
; %bb.326:                              ;   in Loop: Header=BB6_301 Depth=4
	flat_load_b32 v54, v[64:65] offset:4 glc
	s_waitcnt vmcnt(0) lgkmcnt(0)
	v_ashrrev_i32_e32 v55, 31, v54
.LBB6_327:                              ;   in Loop: Header=BB6_301 Depth=4
	s_or_b32 exec_lo, exec_lo, s35
	s_delay_alu instid0(SALU_CYCLE_1)
	s_or_not1_b32 s11, vcc_lo, exec_lo
	s_or_b32 exec_lo, exec_lo, s34
	s_and_saveexec_b32 vcc_lo, s11
	s_cbranch_execz .LBB6_324
.LBB6_328:                              ;   in Loop: Header=BB6_301 Depth=4
	v_mul_lo_u32 v9, v53, v98
	v_mul_lo_u32 v27, v52, v128
	v_mad_u64_u32 v[54:55], null, v52, v98, 0
	s_delay_alu instid0(VALU_DEP_1)
	v_add3_u32 v55, v55, v27, v9
	s_or_b32 exec_lo, exec_lo, vcc_lo
	s_cbranch_execnz .LBB6_809
.LBB6_329:                              ;   in Loop: Header=BB6_301 Depth=4
	s_delay_alu instid0(VALU_DEP_2)
	v_add_co_u32 v52, vcc_lo, v20, v54
	v_and_b32_e32 v9, 0x2000, v97
	v_add_co_ci_u32_e32 v53, vcc_lo, v21, v55, vcc_lo
	s_mov_b32 s11, exec_lo
	ds_store_b64 v0, v[52:53]
	v_cmpx_ne_u32_e32 0, v9
	s_cbranch_execz .LBB6_331
; %bb.330:                              ;   in Loop: Header=BB6_301 Depth=4
	ds_load_b64 v[52:53], v0 offset:584
	s_waitcnt lgkmcnt(0)
	v_add_co_u32 v52, vcc_lo, v52, 1
	v_add_co_ci_u32_e32 v53, vcc_lo, 0, v53, vcc_lo
	ds_store_b64 v0, v[52:53] offset:584
.LBB6_331:                              ;   in Loop: Header=BB6_301 Depth=4
	s_or_b32 exec_lo, exec_lo, s11
	v_add_co_u32 v18, vcc_lo, v18, 2
	v_add_co_ci_u32_e32 v19, vcc_lo, 0, v19, vcc_lo
.LBB6_332:                              ;   in Loop: Header=BB6_301 Depth=4
	s_or_b32 exec_lo, exec_lo, s12
	s_and_saveexec_b32 s11, s4
	s_cbranch_execz .LBB6_354
; %bb.333:                              ;   in Loop: Header=BB6_301 Depth=4
	s_and_saveexec_b32 s12, s5
	s_delay_alu instid0(SALU_CYCLE_1)
	s_xor_b32 s12, exec_lo, s12
	s_cbranch_execz .LBB6_351
; %bb.334:                              ;   in Loop: Header=BB6_301 Depth=4
	s_and_saveexec_b32 s34, s2
	s_cbranch_execz .LBB6_350
; %bb.335:                              ;   in Loop: Header=BB6_301 Depth=4
	s_mov_b32 s36, exec_lo
	s_mov_b32 s35, exec_lo
	v_mbcnt_lo_u32_b32 v9, s36, 0
	s_waitcnt lgkmcnt(0)
	s_waitcnt_vscnt null, 0x0
	buffer_gl1_inv
	buffer_gl0_inv
	v_cmpx_eq_u32_e32 0, v9
	s_cbranch_execz .LBB6_337
; %bb.336:                              ;   in Loop: Header=BB6_301 Depth=4
	s_bcnt1_i32_b32 vcc_lo, s36
	s_delay_alu instid0(SALU_CYCLE_1)
	v_dual_mov_b32 v53, v26 :: v_dual_mov_b32 v52, vcc_lo
	ds_add_u64 v0, v[52:53]
	s_cbranch_execnz .LBB6_883
.LBB6_337:                              ;   in Loop: Header=BB6_301 Depth=4
	s_or_b32 exec_lo, exec_lo, s35
	s_cbranch_execnz .LBB6_867
; %bb.338:                              ;   in Loop: Header=BB6_301 Depth=4
	ds_load_b64 v[52:53], v0
	v_add_co_u32 v10, vcc_lo, v10, v100
	v_add_co_ci_u32_e32 v11, vcc_lo, 0, v11, vcc_lo
	s_mov_b32 s35, exec_lo
	s_waitcnt lgkmcnt(0)
	s_delay_alu instid0(VALU_DEP_1)
	v_cmpx_lt_u64_e64 v[52:53], v[10:11]
	s_cbranch_execz .LBB6_349
; %bb.339:                              ;   in Loop: Header=BB6_301 Depth=4
	s_mov_b32 s36, 0
	s_mov_b32 s39, 0
                                        ; implicit-def: $sgpr37
                                        ; implicit-def: $sgpr38
	s_branch .LBB6_341
.LBB6_340:                              ;   in Loop: Header=BB6_341 Depth=5
	s_or_b32 exec_lo, exec_lo, s41
	s_delay_alu instid0(SALU_CYCLE_1) | instskip(NEXT) | instid1(SALU_CYCLE_1)
	s_and_b32 vcc_lo, exec_lo, vcc_lo
	s_or_b32 s36, vcc_lo, s36
	s_and_not1_b32 vcc_lo, s37, exec_lo
	s_and_b32 s37, s38, exec_lo
	s_delay_alu instid0(SALU_CYCLE_1)
	s_or_b32 s37, vcc_lo, s37
	s_and_not1_b32 exec_lo, exec_lo, s36
	s_cbranch_execz .LBB6_347
.LBB6_341:                              ;   Parent Loop BB6_65 Depth=1
                                        ;     Parent Loop BB6_101 Depth=2
                                        ;       Parent Loop BB6_299 Depth=3
                                        ;         Parent Loop BB6_301 Depth=4
                                        ; =>        This Inner Loop Header: Depth=5
	s_add_i32 s39, s39, 1
                                        ; implicit-def: $sgpr41
	s_delay_alu instid0(SALU_CYCLE_1) | instskip(SKIP_1) | instid1(SALU_CYCLE_1)
	s_cmpk_lg_i32 s39, 0x2710
	s_cselect_b32 s40, -1, 0
	s_and_b32 vcc_lo, exec_lo, s40
	s_cbranch_vccz .LBB6_345
.LBB6_342:                              ;   in Loop: Header=BB6_341 Depth=5
	s_and_not1_b32 s38, s38, exec_lo
	s_and_b32 s41, s41, exec_lo
	s_mov_b32 vcc_lo, -1
	s_or_b32 s38, s38, s41
	s_and_saveexec_b32 s41, s40
	s_cbranch_execz .LBB6_340
; %bb.343:                              ;   in Loop: Header=BB6_341 Depth=5
	s_sleep 1
	s_cbranch_execnz .LBB6_907
; %bb.344:                              ;   in Loop: Header=BB6_341 Depth=5
	ds_load_b64 v[52:53], v0
	s_and_not1_b32 s38, s38, exec_lo
	s_waitcnt lgkmcnt(0)
	v_cmp_ge_u64_e32 vcc_lo, v[52:53], v[10:11]
	s_or_not1_b32 vcc_lo, vcc_lo, exec_lo
	s_branch .LBB6_340
.LBB6_345:                              ;   in Loop: Header=BB6_341 Depth=5
	s_cbranch_execnz .LBB6_919
; %bb.346:                              ;   in Loop: Header=BB6_341 Depth=5
	ds_load_b64 v[52:53], v0
	s_and_not1_b32 s40, s40, exec_lo
	s_mov_b32 s39, 0
	s_mov_b32 s41, -1
	s_waitcnt lgkmcnt(0)
	flat_load_b32 v9, v[52:53] glc
	s_waitcnt vmcnt(0) lgkmcnt(0)
	buffer_gl1_inv
	buffer_gl0_inv
	v_cmp_eq_u32_e32 vcc_lo, 0, v9
	s_and_b32 vcc_lo, vcc_lo, exec_lo
	s_delay_alu instid0(SALU_CYCLE_1)
	s_or_b32 s40, s40, vcc_lo
	s_branch .LBB6_342
.LBB6_347:                              ;   in Loop: Header=BB6_301 Depth=4
	s_or_b32 exec_lo, exec_lo, s36
	s_and_saveexec_b32 vcc_lo, s37
	s_delay_alu instid0(SALU_CYCLE_1)
	s_xor_b32 vcc_lo, exec_lo, vcc_lo
	s_cbranch_execz .LBB6_349
; %bb.348:                              ;   in Loop: Header=BB6_301 Depth=4
	ds_store_b32 v0, v131
	s_cbranch_execnz .LBB6_971
.LBB6_349:                              ;   in Loop: Header=BB6_301 Depth=4
	s_or_b32 exec_lo, exec_lo, s35
	;;#ASMSTART
	s_wakeup
	;;#ASMEND
.LBB6_350:                              ;   in Loop: Header=BB6_301 Depth=4
	s_or_b32 exec_lo, exec_lo, s34
.LBB6_351:                              ;   in Loop: Header=BB6_301 Depth=4
	s_and_not1_saveexec_b32 s12, s12
	s_cbranch_execz .LBB6_353
; %bb.352:                              ;   in Loop: Header=BB6_301 Depth=4
	s_waitcnt lgkmcnt(0)
	s_waitcnt_vscnt null, 0x0
	buffer_gl1_inv
	buffer_gl0_inv
	s_barrier
.LBB6_353:                              ;   in Loop: Header=BB6_301 Depth=4
	s_or_b32 exec_lo, exec_lo, s12
.LBB6_354:                              ;   in Loop: Header=BB6_301 Depth=4
	s_delay_alu instid0(SALU_CYCLE_1)
	s_or_b32 exec_lo, exec_lo, s11
	s_cbranch_execnz .LBB6_793
; %bb.355:                              ;   in Loop: Header=BB6_301 Depth=4
	ds_load_b32 v27, v0
	v_and_b32_e32 v9, 0x4000, v97
	s_xor_b32 s11, s3, -1
	s_delay_alu instid0(VALU_DEP_1) | instskip(SKIP_1) | instid1(SALU_CYCLE_1)
	v_cmp_ne_u32_e32 vcc_lo, 0, v9
	s_and_b32 s12, s11, vcc_lo
	s_and_saveexec_b32 s11, s12
	s_cbranch_execz .LBB6_377
; %bb.356:                              ;   in Loop: Header=BB6_301 Depth=4
	s_and_saveexec_b32 s12, s5
	s_delay_alu instid0(SALU_CYCLE_1)
	s_xor_b32 s12, exec_lo, s12
	s_cbranch_execz .LBB6_374
; %bb.357:                              ;   in Loop: Header=BB6_301 Depth=4
	s_and_saveexec_b32 s34, s2
	s_cbranch_execz .LBB6_373
; %bb.358:                              ;   in Loop: Header=BB6_301 Depth=4
	s_mov_b32 s36, exec_lo
	s_mov_b32 s35, exec_lo
	v_mbcnt_lo_u32_b32 v9, s36, 0
	s_waitcnt lgkmcnt(0)
	s_waitcnt_vscnt null, 0x0
	buffer_gl1_inv
	buffer_gl0_inv
	v_cmpx_eq_u32_e32 0, v9
	s_cbranch_execz .LBB6_360
; %bb.359:                              ;   in Loop: Header=BB6_301 Depth=4
	s_bcnt1_i32_b32 vcc_lo, s36
	s_delay_alu instid0(SALU_CYCLE_1)
	v_dual_mov_b32 v53, v26 :: v_dual_mov_b32 v52, vcc_lo
	ds_add_u64 v0, v[52:53]
	s_cbranch_execnz .LBB6_901
.LBB6_360:                              ;   in Loop: Header=BB6_301 Depth=4
	s_or_b32 exec_lo, exec_lo, s35
	s_cbranch_execnz .LBB6_893
; %bb.361:                              ;   in Loop: Header=BB6_301 Depth=4
	ds_load_b64 v[52:53], v0
	v_add_co_u32 v10, vcc_lo, v10, v100
	v_add_co_ci_u32_e32 v11, vcc_lo, 0, v11, vcc_lo
	s_mov_b32 s35, exec_lo
	s_waitcnt lgkmcnt(0)
	s_delay_alu instid0(VALU_DEP_1)
	v_cmpx_lt_u64_e64 v[52:53], v[10:11]
	s_cbranch_execz .LBB6_372
; %bb.362:                              ;   in Loop: Header=BB6_301 Depth=4
	s_mov_b32 s36, 0
	s_mov_b32 s39, 0
                                        ; implicit-def: $sgpr37
                                        ; implicit-def: $sgpr38
	s_branch .LBB6_364
.LBB6_363:                              ;   in Loop: Header=BB6_364 Depth=5
	s_or_b32 exec_lo, exec_lo, s41
	s_delay_alu instid0(SALU_CYCLE_1) | instskip(NEXT) | instid1(SALU_CYCLE_1)
	s_and_b32 vcc_lo, exec_lo, vcc_lo
	s_or_b32 s36, vcc_lo, s36
	s_and_not1_b32 vcc_lo, s37, exec_lo
	s_and_b32 s37, s38, exec_lo
	s_delay_alu instid0(SALU_CYCLE_1)
	s_or_b32 s37, vcc_lo, s37
	s_and_not1_b32 exec_lo, exec_lo, s36
	s_cbranch_execz .LBB6_370
.LBB6_364:                              ;   Parent Loop BB6_65 Depth=1
                                        ;     Parent Loop BB6_101 Depth=2
                                        ;       Parent Loop BB6_299 Depth=3
                                        ;         Parent Loop BB6_301 Depth=4
                                        ; =>        This Inner Loop Header: Depth=5
	s_add_i32 s39, s39, 1
                                        ; implicit-def: $sgpr41
	s_delay_alu instid0(SALU_CYCLE_1) | instskip(SKIP_1) | instid1(SALU_CYCLE_1)
	s_cmpk_lg_i32 s39, 0x2710
	s_cselect_b32 s40, -1, 0
	s_and_b32 vcc_lo, exec_lo, s40
	s_cbranch_vccz .LBB6_368
.LBB6_365:                              ;   in Loop: Header=BB6_364 Depth=5
	s_and_not1_b32 s38, s38, exec_lo
	s_and_b32 s41, s41, exec_lo
	s_mov_b32 vcc_lo, -1
	s_or_b32 s38, s38, s41
	s_and_saveexec_b32 s41, s40
	s_cbranch_execz .LBB6_363
; %bb.366:                              ;   in Loop: Header=BB6_364 Depth=5
	s_sleep 1
	s_cbranch_execnz .LBB6_937
; %bb.367:                              ;   in Loop: Header=BB6_364 Depth=5
	ds_load_b64 v[52:53], v0
	s_and_not1_b32 s38, s38, exec_lo
	s_waitcnt lgkmcnt(0)
	v_cmp_ge_u64_e32 vcc_lo, v[52:53], v[10:11]
	s_or_not1_b32 vcc_lo, vcc_lo, exec_lo
	s_branch .LBB6_363
.LBB6_368:                              ;   in Loop: Header=BB6_364 Depth=5
	s_cbranch_execnz .LBB6_943
; %bb.369:                              ;   in Loop: Header=BB6_364 Depth=5
	ds_load_b64 v[52:53], v0
	s_and_not1_b32 s40, s40, exec_lo
	s_mov_b32 s39, 0
	s_mov_b32 s41, -1
	s_waitcnt lgkmcnt(0)
	flat_load_b32 v9, v[52:53] glc
	s_waitcnt vmcnt(0) lgkmcnt(0)
	buffer_gl1_inv
	buffer_gl0_inv
	v_cmp_eq_u32_e32 vcc_lo, 0, v9
	s_and_b32 vcc_lo, vcc_lo, exec_lo
	s_delay_alu instid0(SALU_CYCLE_1)
	s_or_b32 s40, s40, vcc_lo
	s_branch .LBB6_365
.LBB6_370:                              ;   in Loop: Header=BB6_301 Depth=4
	s_or_b32 exec_lo, exec_lo, s36
	s_and_saveexec_b32 vcc_lo, s37
	s_delay_alu instid0(SALU_CYCLE_1)
	s_xor_b32 vcc_lo, exec_lo, vcc_lo
	s_cbranch_execz .LBB6_372
; %bb.371:                              ;   in Loop: Header=BB6_301 Depth=4
	ds_store_b32 v0, v131
	s_cbranch_execnz .LBB6_979
.LBB6_372:                              ;   in Loop: Header=BB6_301 Depth=4
	s_or_b32 exec_lo, exec_lo, s35
	;;#ASMSTART
	s_wakeup
	;;#ASMEND
.LBB6_373:                              ;   in Loop: Header=BB6_301 Depth=4
	s_or_b32 exec_lo, exec_lo, s34
.LBB6_374:                              ;   in Loop: Header=BB6_301 Depth=4
	s_and_not1_saveexec_b32 s12, s12
	s_cbranch_execz .LBB6_376
; %bb.375:                              ;   in Loop: Header=BB6_301 Depth=4
	s_waitcnt lgkmcnt(0)
	s_waitcnt_vscnt null, 0x0
	buffer_gl1_inv
	buffer_gl0_inv
	s_barrier
.LBB6_376:                              ;   in Loop: Header=BB6_301 Depth=4
	s_or_b32 exec_lo, exec_lo, s12
.LBB6_377:                              ;   in Loop: Header=BB6_301 Depth=4
	s_delay_alu instid0(SALU_CYCLE_1)
	s_or_b32 exec_lo, exec_lo, s11
	s_cbranch_execnz .LBB6_827
; %bb.378:                              ;   in Loop: Header=BB6_301 Depth=4
	ds_load_b64 v[52:53], v0
	v_mov_b32_e32 v9, 0
	s_waitcnt lgkmcnt(0)
	v_cmp_eq_u64_e32 vcc_lo, 0, v[52:53]
	s_or_b32 s11, vcc_lo, vcc_lo
	s_delay_alu instid0(SALU_CYCLE_1)
	s_and_b32 vcc_lo, exec_lo, s11
	s_cbranch_vccnz .LBB6_412
; %bb.379:                              ;   in Loop: Header=BB6_301 Depth=4
	s_mov_b32 s11, -1
	s_and_saveexec_b32 s12, s6
	s_cbranch_execz .LBB6_381
; %bb.380:                              ;   in Loop: Header=BB6_301 Depth=4
	ds_load_b32 v9, v0 offset:720
	s_waitcnt lgkmcnt(0)
	v_and_b32_e32 v9, 15, v9
	s_delay_alu instid0(VALU_DEP_1)
	v_cmp_eq_u32_e32 vcc_lo, 0, v9
	s_or_not1_b32 s11, vcc_lo, exec_lo
.LBB6_381:                              ;   in Loop: Header=BB6_301 Depth=4
	s_or_b32 exec_lo, exec_lo, s12
	s_and_saveexec_b32 s12, s6
	s_cbranch_execz .LBB6_383
; %bb.382:                              ;   in Loop: Header=BB6_301 Depth=4
	ds_load_b32 v9, v0 offset:784
	s_waitcnt lgkmcnt(0)
	v_and_b32_e32 v9, 15, v9
	s_delay_alu instid0(VALU_DEP_1) | instskip(SKIP_3) | instid1(SALU_CYCLE_1)
	v_cmp_eq_u32_e32 vcc_lo, 0, v9
	s_and_b32 vcc_lo, s11, vcc_lo
	s_and_not1_b32 s11, s11, exec_lo
	s_and_b32 vcc_lo, vcc_lo, exec_lo
	s_or_b32 s11, s11, vcc_lo
.LBB6_383:                              ;   in Loop: Header=BB6_301 Depth=4
	s_or_b32 exec_lo, exec_lo, s12
	v_cmp_eq_u32_e32 vcc_lo, 0, v27
	s_xor_b32 s11, s11, -1
	v_mov_b32_e32 v65, v0
	v_cndmask_b32_e64 v52, 0, 1, s11
	;;#ASMSTART
	;;#ASMEND
	v_cndmask_b32_e32 v9, 0, v8, vcc_lo
	s_delay_alu instid0(VALU_DEP_2)
	v_cmp_ne_u32_e32 vcc_lo, 0, v52
	v_mov_b32_e32 v27, 0
	v_mov_b32_e32 v71, v36
	s_mov_b32 s11, -1
	v_mov_b32_e32 v64, v9
	s_cbranch_vccnz .LBB6_399
; %bb.384:                              ;   in Loop: Header=BB6_301 Depth=4
	v_ashrrev_i32_e32 v27, 31, v9
	s_mov_b32 s11, exec_lo
	s_delay_alu instid0(VALU_DEP_1) | instskip(NEXT) | instid1(VALU_DEP_1)
	v_lshrrev_b32_e32 v27, 20, v27
	v_add_nc_u32_e32 v27, v9, v27
	s_delay_alu instid0(VALU_DEP_1) | instskip(NEXT) | instid1(VALU_DEP_1)
	v_ashrrev_i32_e32 v27, 12, v27
	v_sub_nc_u32_e32 v69, v27, v36
	s_delay_alu instid0(VALU_DEP_1)
	v_cmpx_lt_i32_e32 0, v69
	s_cbranch_execz .LBB6_389
; %bb.385:                              ;   in Loop: Header=BB6_301 Depth=4
	s_cbranch_execnz .LBB6_925
; %bb.386:                              ;   in Loop: Header=BB6_301 Depth=4
	ds_load_b64 v[52:53], v0
	s_mov_b32 s12, 0
	s_waitcnt lgkmcnt(0)
	v_dual_mov_b32 v55, v53 :: v_dual_mov_b32 v54, v52
.LBB6_387:                              ;   Parent Loop BB6_65 Depth=1
                                        ;     Parent Loop BB6_101 Depth=2
                                        ;       Parent Loop BB6_299 Depth=3
                                        ;         Parent Loop BB6_301 Depth=4
                                        ; =>        This Inner Loop Header: Depth=5
	s_delay_alu instid0(VALU_DEP_1) | instskip(NEXT) | instid1(VALU_DEP_2)
	v_add_co_u32 v64, vcc_lo, v101, v54
	v_add_co_ci_u32_e32 v65, vcc_lo, v103, v55, vcc_lo
	v_sub_nc_u32_e32 v69, v69, v100
	s_clause 0x7
	global_load_b128 v[80:83], v[64:65], off slc dlc
	global_load_b128 v[144:147], v[64:65], off offset:512 slc dlc
	global_load_b128 v[148:151], v[64:65], off offset:1024 slc dlc
	;; [unrolled: 1-line block ×7, first 2 shown]
	v_add_co_u32 v64, vcc_lo, v101, v52
	v_add_co_ci_u32_e32 v65, vcc_lo, v103, v53, vcc_lo
	v_add_co_u32 v54, vcc_lo, v54, v112
	v_add_co_ci_u32_e32 v55, vcc_lo, v55, v113, vcc_lo
	;; [unrolled: 2-line block ×3, first 2 shown]
	v_cmp_gt_i32_e32 vcc_lo, 1, v69
	s_waitcnt vmcnt(7)
	global_store_b128 v[64:65], v[80:83], off glc slc dlc
	s_waitcnt vmcnt(6)
	global_store_b128 v[64:65], v[144:147], off offset:512 glc slc dlc
	s_waitcnt vmcnt(5)
	global_store_b128 v[64:65], v[148:151], off offset:1024 glc slc dlc
	s_waitcnt vmcnt(4)
	global_store_b128 v[64:65], v[160:163], off offset:1536 glc slc dlc
	s_waitcnt vmcnt(3)
	global_store_b128 v[64:65], v[164:167], off offset:2048 glc slc dlc
	s_waitcnt vmcnt(2)
	global_store_b128 v[64:65], v[176:179], off offset:2560 glc slc dlc
	s_waitcnt vmcnt(1)
	global_store_b128 v[64:65], v[180:183], off offset:3072 glc slc dlc
	s_waitcnt vmcnt(0)
	global_store_b128 v[64:65], v[40:43], off offset:3584 glc slc dlc
	s_or_b32 s12, vcc_lo, s12
	s_delay_alu instid0(SALU_CYCLE_1)
	s_and_not1_b32 exec_lo, exec_lo, s12
	s_cbranch_execnz .LBB6_387
; %bb.388:                              ;   in Loop: Header=BB6_301 Depth=4
	s_or_b32 exec_lo, exec_lo, s12
.LBB6_389:                              ;   in Loop: Header=BB6_301 Depth=4
	s_delay_alu instid0(SALU_CYCLE_1) | instskip(SKIP_3) | instid1(VALU_DEP_1)
	s_or_b32 exec_lo, exec_lo, s11
	v_dual_mov_b32 v27, 0 :: v_dual_lshlrev_b32 v54, 12, v27
	s_mov_b32 s11, 0
	s_mov_b32 s34, exec_lo
                                        ; implicit-def: $vgpr64
                                        ; implicit-def: $vgpr65
                                        ; implicit-def: $vgpr71
	v_cmpx_ne_u32_e64 v9, v54
	s_cbranch_execz .LBB6_398
; %bb.390:                              ;   in Loop: Header=BB6_301 Depth=4
	v_lshlrev_b32_e32 v27, 5, v69
	v_sub_nc_u32_e32 v53, v9, v54
	s_mov_b32 s35, exec_lo
	s_delay_alu instid0(VALU_DEP_2) | instskip(NEXT) | instid1(VALU_DEP_2)
	v_sub_nc_u32_e32 v27, v99, v27
	v_ashrrev_i32_e32 v55, 31, v53
	s_delay_alu instid0(VALU_DEP_2) | instskip(NEXT) | instid1(VALU_DEP_2)
	v_ashrrev_i32_e32 v52, 31, v27
	v_lshrrev_b32_e32 v55, 23, v55
	s_delay_alu instid0(VALU_DEP_2) | instskip(NEXT) | instid1(VALU_DEP_2)
	v_lshrrev_b32_e32 v52, 27, v52
	v_add_nc_u32_e32 v65, v53, v55
	s_delay_alu instid0(VALU_DEP_2) | instskip(NEXT) | instid1(VALU_DEP_2)
	v_add_nc_u32_e32 v52, v27, v52
	v_and_b32_e32 v55, 0xfffffe00, v65
	v_ashrrev_i32_e32 v65, 9, v65
	s_delay_alu instid0(VALU_DEP_3) | instskip(NEXT) | instid1(VALU_DEP_3)
	v_and_b32_e32 v64, 0xffffffe0, v52
	v_sub_nc_u32_e32 v70, v53, v55
	v_ashrrev_i32_e32 v52, 5, v52
	s_delay_alu instid0(VALU_DEP_3) | instskip(NEXT) | instid1(VALU_DEP_3)
	v_sub_nc_u32_e32 v69, v27, v64
	v_cmp_lt_i32_e32 vcc_lo, 15, v70
	s_delay_alu instid0(VALU_DEP_2) | instskip(SKIP_1) | instid1(VALU_DEP_2)
	v_lshlrev_b32_e32 v27, 4, v69
	v_add_co_ci_u32_e64 v65, s11, 0, v65, vcc_lo
	v_lshl_add_u32 v64, v52, 9, v27
	s_delay_alu instid0(VALU_DEP_2) | instskip(NEXT) | instid1(VALU_DEP_2)
	v_sub_nc_u32_e32 v80, v65, v52
	v_sub_nc_u32_e32 v27, v53, v64
	s_delay_alu instid0(VALU_DEP_1)
	v_cmpx_lt_i32_e32 15, v27
	s_cbranch_execz .LBB6_395
; %bb.391:                              ;   in Loop: Header=BB6_301 Depth=4
	s_cbranch_execnz .LBB6_951
; %bb.392:                              ;   in Loop: Header=BB6_301 Depth=4
	ds_load_b64 v[52:53], v0
	v_add_nc_u32_e32 v64, v64, v54
	s_mov_b32 s36, 0
	s_delay_alu instid0(VALU_DEP_1)
	v_ashrrev_i32_e32 v65, 31, v64
.LBB6_393:                              ;   Parent Loop BB6_65 Depth=1
                                        ;     Parent Loop BB6_101 Depth=2
                                        ;       Parent Loop BB6_299 Depth=3
                                        ;         Parent Loop BB6_301 Depth=4
                                        ; =>        This Inner Loop Header: Depth=5
	s_waitcnt lgkmcnt(0)
	v_add_co_u32 v85, s11, v52, v64
	s_delay_alu instid0(VALU_DEP_1)
	v_add_co_ci_u32_e64 v86, s11, v53, v65, s11
	v_sub_nc_u32_e32 v27, v27, v102
	v_add_co_u32 v64, s12, v64, v114
	global_load_b128 v[81:84], v[85:86], off slc dlc
	v_sub_nc_u32_e32 v80, v80, v100
	v_cmp_gt_i32_e64 s11, 16, v27
	v_add_co_ci_u32_e64 v65, s12, v65, v115, s12
	s_delay_alu instid0(VALU_DEP_2)
	s_or_b32 s36, s11, s36
	s_waitcnt vmcnt(0)
	global_store_b128 v[85:86], v[81:84], off glc slc dlc
	s_and_not1_b32 exec_lo, exec_lo, s36
	s_cbranch_execnz .LBB6_393
; %bb.394:                              ;   in Loop: Header=BB6_301 Depth=4
	s_or_b32 exec_lo, exec_lo, s36
.LBB6_395:                              ;   in Loop: Header=BB6_301 Depth=4
	s_delay_alu instid0(SALU_CYCLE_1) | instskip(SKIP_3) | instid1(VALU_DEP_1)
	s_or_b32 exec_lo, exec_lo, s35
	v_dual_mov_b32 v27, 0 :: v_dual_and_b32 v52, 15, v9
	s_mov_b32 s12, 0
	s_mov_b32 s35, exec_lo
                                        ; implicit-def: $vgpr65
                                        ; implicit-def: $vgpr71
	v_cndmask_b32_e32 v64, v70, v52, vcc_lo
	s_delay_alu instid0(VALU_DEP_1)
	v_cmpx_ne_u32_e32 0, v64
; %bb.396:                              ;   in Loop: Header=BB6_301 Depth=4
	v_cmp_lt_i32_e64 s11, 0, v80
	v_sub_nc_u32_e32 v52, v70, v52
	s_mov_b32 s12, exec_lo
	s_delay_alu instid0(VALU_DEP_2) | instskip(NEXT) | instid1(VALU_DEP_1)
	v_cndmask_b32_e64 v27, 0, v100, s11
	v_sub_nc_u32_e32 v27, v27, v80
	s_delay_alu instid0(VALU_DEP_1) | instskip(NEXT) | instid1(VALU_DEP_1)
	v_lshl_add_u32 v65, v27, 5, v69
	v_ashrrev_i32_e32 v27, 31, v65
	s_delay_alu instid0(VALU_DEP_1) | instskip(NEXT) | instid1(VALU_DEP_1)
	v_lshrrev_b32_e32 v27, 27, v27
	v_dual_cndmask_b32 v52, 0, v52 :: v_dual_add_nc_u32 v53, v65, v27
	s_delay_alu instid0(VALU_DEP_1) | instskip(NEXT) | instid1(VALU_DEP_2)
	v_add3_u32 v27, v55, v54, v52
	v_ashrrev_i32_e32 v71, 5, v53
; %bb.397:                              ;   in Loop: Header=BB6_301 Depth=4
	s_or_b32 exec_lo, exec_lo, s35
	s_delay_alu instid0(SALU_CYCLE_1)
	s_and_b32 s11, s12, exec_lo
.LBB6_398:                              ;   in Loop: Header=BB6_301 Depth=4
	s_or_b32 exec_lo, exec_lo, s34
.LBB6_399:                              ;   in Loop: Header=BB6_301 Depth=4
	s_and_saveexec_b32 s12, s11
	s_cbranch_execz .LBB6_411
; %bb.400:                              ;   in Loop: Header=BB6_301 Depth=4
	s_delay_alu instid0(VALU_DEP_1) | instskip(SKIP_1) | instid1(VALU_DEP_1)
	v_ashrrev_i32_e32 v52, 31, v64
	s_mov_b32 s11, exec_lo
	v_lshrrev_b32_e32 v52, 22, v52
	s_delay_alu instid0(VALU_DEP_1) | instskip(NEXT) | instid1(VALU_DEP_1)
	v_add_nc_u32_e32 v52, v64, v52
	v_ashrrev_i32_e32 v70, 10, v52
	s_delay_alu instid0(VALU_DEP_1) | instskip(NEXT) | instid1(VALU_DEP_1)
	v_sub_nc_u32_e32 v69, v70, v71
	v_cmpx_lt_i32_e32 0, v69
	s_cbranch_execz .LBB6_405
; %bb.401:                              ;   in Loop: Header=BB6_301 Depth=4
	s_cbranch_execnz .LBB6_913
; %bb.402:                              ;   in Loop: Header=BB6_301 Depth=4
	v_ashrrev_i32_e32 v52, 31, v65
	s_mov_b32 s34, 0
	s_delay_alu instid0(VALU_DEP_1) | instskip(NEXT) | instid1(VALU_DEP_1)
	v_lshrrev_b32_e32 v52, 27, v52
	v_add_nc_u32_e32 v54, v65, v52
	ds_load_b64 v[52:53], v0
	v_lshlrev_b32_e32 v55, 10, v71
	v_and_b32_e32 v54, 0xffffffe0, v54
	s_delay_alu instid0(VALU_DEP_1) | instskip(NEXT) | instid1(VALU_DEP_1)
	v_sub_nc_u32_e32 v54, v65, v54
	v_add3_u32 v71, v27, v54, v55
	s_delay_alu instid0(VALU_DEP_1)
	v_ashrrev_i32_e32 v80, 31, v71
	s_waitcnt lgkmcnt(0)
	v_dual_mov_b32 v55, v53 :: v_dual_mov_b32 v54, v52
.LBB6_403:                              ;   Parent Loop BB6_65 Depth=1
                                        ;     Parent Loop BB6_101 Depth=2
                                        ;       Parent Loop BB6_299 Depth=3
                                        ;         Parent Loop BB6_301 Depth=4
                                        ; =>        This Inner Loop Header: Depth=5
	s_delay_alu instid0(VALU_DEP_1) | instskip(NEXT) | instid1(VALU_DEP_2)
	v_add_co_u32 v81, vcc_lo, v71, v54
	v_add_co_ci_u32_e32 v82, vcc_lo, v80, v55, vcc_lo
	v_sub_nc_u32_e32 v69, v69, v100
	s_clause 0x1f
	flat_load_u8 v83, v[81:82] slc dlc
	flat_load_u8 v84, v[81:82] offset:32 slc dlc
	flat_load_u8 v85, v[81:82] offset:64 slc dlc
	;; [unrolled: 1-line block ×31, first 2 shown]
	v_add_co_u32 v81, vcc_lo, v71, v52
	v_add_co_ci_u32_e32 v82, vcc_lo, v80, v53, vcc_lo
	v_add_co_u32 v54, vcc_lo, v54, v116
	v_add_co_ci_u32_e32 v55, vcc_lo, v55, v117, vcc_lo
	;; [unrolled: 2-line block ×3, first 2 shown]
	v_cmp_gt_i32_e32 vcc_lo, 1, v69
	s_waitcnt vmcnt(31) lgkmcnt(31)
	flat_store_b8 v[81:82], v83 glc slc dlc
	s_waitcnt vmcnt(30) lgkmcnt(31)
	flat_store_b8 v[81:82], v84 offset:32 glc slc dlc
	s_waitcnt vmcnt(29) lgkmcnt(31)
	flat_store_b8 v[81:82], v85 offset:64 glc slc dlc
	;; [unrolled: 2-line block ×31, first 2 shown]
	s_or_b32 s34, vcc_lo, s34
	s_delay_alu instid0(SALU_CYCLE_1)
	s_and_not1_b32 exec_lo, exec_lo, s34
	s_cbranch_execnz .LBB6_403
; %bb.404:                              ;   in Loop: Header=BB6_301 Depth=4
	s_or_b32 exec_lo, exec_lo, s34
.LBB6_405:                              ;   in Loop: Header=BB6_301 Depth=4
	s_delay_alu instid0(SALU_CYCLE_1) | instskip(SKIP_2) | instid1(VALU_DEP_1)
	s_or_b32 exec_lo, exec_lo, s11
	v_lshlrev_b32_e32 v52, 10, v70
	s_mov_b32 s34, exec_lo
	v_cmpx_ne_u32_e64 v64, v52
	s_cbranch_execz .LBB6_410
; %bb.406:                              ;   in Loop: Header=BB6_301 Depth=4
	v_ashrrev_i32_e32 v53, 31, v65
	v_lshlrev_b32_e32 v54, 5, v69
	s_delay_alu instid0(VALU_DEP_2) | instskip(NEXT) | instid1(VALU_DEP_1)
	v_lshrrev_b32_e32 v53, 27, v53
	v_add_nc_u32_e32 v53, v65, v53
	s_delay_alu instid0(VALU_DEP_1) | instskip(NEXT) | instid1(VALU_DEP_1)
	v_and_b32_e32 v53, 0xffffffe0, v53
	v_sub_nc_u32_e32 v53, v65, v53
	s_delay_alu instid0(VALU_DEP_1) | instskip(NEXT) | instid1(VALU_DEP_1)
	v_sub_nc_u32_e32 v53, v53, v54
	v_add_nc_u32_e32 v55, v52, v53
	s_delay_alu instid0(VALU_DEP_1) | instskip(NEXT) | instid1(VALU_DEP_1)
	v_sub_nc_u32_e32 v54, v64, v55
	v_cmp_lt_i32_e32 vcc_lo, 0, v54
	s_and_b32 exec_lo, exec_lo, vcc_lo
	s_cbranch_execz .LBB6_410
; %bb.407:                              ;   in Loop: Header=BB6_301 Depth=4
	s_cbranch_execnz .LBB6_947
; %bb.408:                              ;   in Loop: Header=BB6_301 Depth=4
	ds_load_b64 v[52:53], v0
	v_add_nc_u32_e32 v27, v55, v27
	s_mov_b32 s35, 0
	s_delay_alu instid0(VALU_DEP_1)
	v_ashrrev_i32_e32 v55, 31, v27
.LBB6_409:                              ;   Parent Loop BB6_65 Depth=1
                                        ;     Parent Loop BB6_101 Depth=2
                                        ;       Parent Loop BB6_299 Depth=3
                                        ;         Parent Loop BB6_301 Depth=4
                                        ; =>        This Inner Loop Header: Depth=5
	s_waitcnt lgkmcnt(0)
	v_add_co_u32 v64, vcc_lo, v52, v27
	s_delay_alu instid0(VALU_DEP_2)
	v_add_co_ci_u32_e32 v65, vcc_lo, v53, v55, vcc_lo
	v_sub_nc_u32_e32 v54, v54, v118
	v_add_co_u32 v27, s11, v27, v118
	flat_load_u8 v69, v[64:65] slc dlc
	v_add_co_ci_u32_e64 v55, s11, v55, v119, s11
	v_cmp_gt_i32_e32 vcc_lo, 1, v54
	s_or_b32 s35, vcc_lo, s35
	s_waitcnt vmcnt(0) lgkmcnt(0)
	flat_store_b8 v[64:65], v69 glc slc dlc
	s_and_not1_b32 exec_lo, exec_lo, s35
	s_cbranch_execnz .LBB6_409
.LBB6_410:                              ;   in Loop: Header=BB6_301 Depth=4
	s_or_b32 exec_lo, exec_lo, s34
.LBB6_411:                              ;   in Loop: Header=BB6_301 Depth=4
	s_delay_alu instid0(SALU_CYCLE_1)
	s_or_b32 exec_lo, exec_lo, s12
.LBB6_412:                              ;   in Loop: Header=BB6_301 Depth=4
	s_and_saveexec_b32 s11, s4
	s_cbranch_execz .LBB6_434
; %bb.413:                              ;   in Loop: Header=BB6_301 Depth=4
	s_and_saveexec_b32 s12, s5
	s_delay_alu instid0(SALU_CYCLE_1)
	s_xor_b32 s12, exec_lo, s12
	s_cbranch_execz .LBB6_431
; %bb.414:                              ;   in Loop: Header=BB6_301 Depth=4
	s_and_saveexec_b32 s34, s2
	s_cbranch_execz .LBB6_430
; %bb.415:                              ;   in Loop: Header=BB6_301 Depth=4
	s_mov_b32 s36, exec_lo
	s_mov_b32 s35, exec_lo
	v_mbcnt_lo_u32_b32 v27, s36, 0
	s_waitcnt lgkmcnt(0)
	s_waitcnt_vscnt null, 0x0
	buffer_gl1_inv
	buffer_gl0_inv
	v_cmpx_eq_u32_e32 0, v27
	s_cbranch_execz .LBB6_417
; %bb.416:                              ;   in Loop: Header=BB6_301 Depth=4
	s_bcnt1_i32_b32 vcc_lo, s36
	s_delay_alu instid0(SALU_CYCLE_1)
	v_dual_mov_b32 v53, v26 :: v_dual_mov_b32 v52, vcc_lo
	ds_add_u64 v0, v[52:53]
	s_cbranch_execnz .LBB6_939
.LBB6_417:                              ;   in Loop: Header=BB6_301 Depth=4
	s_or_b32 exec_lo, exec_lo, s35
	s_cbranch_execnz .LBB6_931
; %bb.418:                              ;   in Loop: Header=BB6_301 Depth=4
	ds_load_b64 v[52:53], v0
	v_add_co_u32 v10, vcc_lo, v10, v100
	v_add_co_ci_u32_e32 v11, vcc_lo, 0, v11, vcc_lo
	s_mov_b32 s35, exec_lo
	s_waitcnt lgkmcnt(0)
	s_delay_alu instid0(VALU_DEP_1)
	v_cmpx_lt_u64_e64 v[52:53], v[10:11]
	s_cbranch_execz .LBB6_429
; %bb.419:                              ;   in Loop: Header=BB6_301 Depth=4
	s_mov_b32 s36, 0
	s_mov_b32 s39, 0
                                        ; implicit-def: $sgpr37
                                        ; implicit-def: $sgpr38
	s_branch .LBB6_421
.LBB6_420:                              ;   in Loop: Header=BB6_421 Depth=5
	s_or_b32 exec_lo, exec_lo, s41
	s_delay_alu instid0(SALU_CYCLE_1) | instskip(NEXT) | instid1(SALU_CYCLE_1)
	s_and_b32 vcc_lo, exec_lo, vcc_lo
	s_or_b32 s36, vcc_lo, s36
	s_and_not1_b32 vcc_lo, s37, exec_lo
	s_and_b32 s37, s38, exec_lo
	s_delay_alu instid0(SALU_CYCLE_1)
	s_or_b32 s37, vcc_lo, s37
	s_and_not1_b32 exec_lo, exec_lo, s36
	s_cbranch_execz .LBB6_427
.LBB6_421:                              ;   Parent Loop BB6_65 Depth=1
                                        ;     Parent Loop BB6_101 Depth=2
                                        ;       Parent Loop BB6_299 Depth=3
                                        ;         Parent Loop BB6_301 Depth=4
                                        ; =>        This Inner Loop Header: Depth=5
	s_add_i32 s39, s39, 1
                                        ; implicit-def: $sgpr41
	s_delay_alu instid0(SALU_CYCLE_1) | instskip(SKIP_1) | instid1(SALU_CYCLE_1)
	s_cmpk_lg_i32 s39, 0x2710
	s_cselect_b32 s40, -1, 0
	s_and_b32 vcc_lo, exec_lo, s40
	s_cbranch_vccnz .LBB6_424
; %bb.422:                              ;   in Loop: Header=BB6_421 Depth=5
	s_cbranch_execnz .LBB6_963
; %bb.423:                              ;   in Loop: Header=BB6_421 Depth=5
	ds_load_b64 v[52:53], v0
	s_and_not1_b32 s40, s40, exec_lo
	s_mov_b32 s39, 0
	s_mov_b32 s41, -1
	s_waitcnt lgkmcnt(0)
	flat_load_b32 v27, v[52:53] glc
	s_waitcnt vmcnt(0) lgkmcnt(0)
	buffer_gl1_inv
	buffer_gl0_inv
	v_cmp_eq_u32_e32 vcc_lo, 0, v27
	s_and_b32 vcc_lo, vcc_lo, exec_lo
	s_delay_alu instid0(SALU_CYCLE_1)
	s_or_b32 s40, s40, vcc_lo
.LBB6_424:                              ;   in Loop: Header=BB6_421 Depth=5
	s_and_not1_b32 s38, s38, exec_lo
	s_and_b32 s41, s41, exec_lo
	s_mov_b32 vcc_lo, -1
	s_or_b32 s38, s38, s41
	s_and_saveexec_b32 s41, s40
	s_cbranch_execz .LBB6_420
; %bb.425:                              ;   in Loop: Header=BB6_421 Depth=5
	s_sleep 1
	s_cbranch_execnz .LBB6_959
; %bb.426:                              ;   in Loop: Header=BB6_421 Depth=5
	ds_load_b64 v[52:53], v0
	s_and_not1_b32 s38, s38, exec_lo
	s_waitcnt lgkmcnt(0)
	v_cmp_ge_u64_e32 vcc_lo, v[52:53], v[10:11]
	s_or_not1_b32 vcc_lo, vcc_lo, exec_lo
	s_branch .LBB6_420
.LBB6_427:                              ;   in Loop: Header=BB6_301 Depth=4
	s_or_b32 exec_lo, exec_lo, s36
	s_and_saveexec_b32 vcc_lo, s37
	s_delay_alu instid0(SALU_CYCLE_1)
	s_xor_b32 vcc_lo, exec_lo, vcc_lo
	s_cbranch_execz .LBB6_429
; %bb.428:                              ;   in Loop: Header=BB6_301 Depth=4
	ds_store_b32 v0, v131
	s_cbranch_execnz .LBB6_983
.LBB6_429:                              ;   in Loop: Header=BB6_301 Depth=4
	s_or_b32 exec_lo, exec_lo, s35
	;;#ASMSTART
	s_wakeup
	;;#ASMEND
.LBB6_430:                              ;   in Loop: Header=BB6_301 Depth=4
	s_or_b32 exec_lo, exec_lo, s34
.LBB6_431:                              ;   in Loop: Header=BB6_301 Depth=4
	s_and_not1_saveexec_b32 s12, s12
	s_cbranch_execz .LBB6_433
; %bb.432:                              ;   in Loop: Header=BB6_301 Depth=4
	s_waitcnt lgkmcnt(0)
	s_waitcnt_vscnt null, 0x0
	buffer_gl1_inv
	buffer_gl0_inv
	s_barrier
.LBB6_433:                              ;   in Loop: Header=BB6_301 Depth=4
	s_or_b32 exec_lo, exec_lo, s12
.LBB6_434:                              ;   in Loop: Header=BB6_301 Depth=4
	s_delay_alu instid0(SALU_CYCLE_1) | instskip(SKIP_2) | instid1(VALU_DEP_2)
	s_or_b32 exec_lo, exec_lo, s11
	v_and_b32_e32 v27, 16, v97
	v_cmp_lt_i32_e32 vcc_lo, 0, v9
	v_cmp_ne_u32_e64 s11, 0, v27
	s_delay_alu instid0(VALU_DEP_1) | instskip(NEXT) | instid1(SALU_CYCLE_1)
	s_and_b32 s12, s11, vcc_lo
	s_and_saveexec_b32 s11, s12
	s_cbranch_execz .LBB6_436
; %bb.435:                              ;   in Loop: Header=BB6_301 Depth=4
	s_waitcnt lgkmcnt(0)
	s_waitcnt_vscnt null, 0x0
	buffer_gl1_inv
	buffer_gl0_inv
.LBB6_436:                              ;   in Loop: Header=BB6_301 Depth=4
	s_or_b32 exec_lo, exec_lo, s11
	v_cmp_ne_u32_e32 vcc_lo, 0, v27
	s_xor_b32 s11, s7, -1
	s_delay_alu instid0(SALU_CYCLE_1) | instskip(NEXT) | instid1(SALU_CYCLE_1)
	s_and_b32 s12, vcc_lo, s11
	s_and_saveexec_b32 s11, s12
	s_cbranch_execz .LBB6_438
; %bb.437:                              ;   in Loop: Header=BB6_301 Depth=4
	s_waitcnt lgkmcnt(0)
	s_waitcnt_vscnt null, 0x0
	flat_store_b32 v[24:25], v131
.LBB6_438:                              ;   in Loop: Header=BB6_301 Depth=4
	s_or_b32 exec_lo, exec_lo, s11
	v_and_b32_e32 v9, 48, v97
	s_mov_b32 s11, exec_lo
	s_delay_alu instid0(VALU_DEP_1)
	v_cmpx_ne_u32_e32 0, v9
	s_cbranch_execz .LBB6_440
; %bb.439:                              ;   in Loop: Header=BB6_301 Depth=4
	v_add_co_u32 v18, vcc_lo, v18, 2
	v_add_co_ci_u32_e32 v19, vcc_lo, 0, v19, vcc_lo
	s_waitcnt lgkmcnt(0)
	s_waitcnt_vscnt null, 0x0
	flat_store_b64 v[16:17], v[18:19]
.LBB6_440:                              ;   in Loop: Header=BB6_301 Depth=4
	s_or_b32 exec_lo, exec_lo, s11
	v_dual_mov_b32 v9, s31 :: v_dual_add_nc_u32 v68, v8, v68
	s_xor_b32 s11, s30, -1
	s_mov_b32 s30, 0
	s_mov_b32 s31, 2
	s_delay_alu instid0(VALU_DEP_1) | instskip(SKIP_1) | instid1(SALU_CYCLE_1)
	v_cmp_ge_i32_e32 vcc_lo, v68, v66
	s_or_b32 s11, s11, vcc_lo
	s_and_b32 s11, exec_lo, s11
	s_delay_alu instid0(SALU_CYCLE_1) | instskip(NEXT) | instid1(SALU_CYCLE_1)
	s_or_b32 vcc_hi, s11, vcc_hi
	s_and_not1_b32 exec_lo, exec_lo, vcc_hi
	s_cbranch_execnz .LBB6_301
; %bb.441:                              ;   in Loop: Header=BB6_299 Depth=3
	s_or_b32 exec_lo, exec_lo, vcc_hi
.LBB6_442:                              ;   in Loop: Header=BB6_299 Depth=3
	s_delay_alu instid0(SALU_CYCLE_1) | instskip(NEXT) | instid1(SALU_CYCLE_1)
	s_or_b32 exec_lo, exec_lo, s29
	s_mov_b32 s12, exec_lo
	v_cmpx_gt_i32_e32 2, v9
	s_cbranch_execz .LBB6_504
; %bb.443:                              ;   in Loop: Header=BB6_299 Depth=3
	v_cmp_eq_u32_e64 s11, 0, v9
	s_mov_b32 s29, 0
.LBB6_444:                              ;   Parent Loop BB6_65 Depth=1
                                        ;     Parent Loop BB6_101 Depth=2
                                        ;       Parent Loop BB6_299 Depth=3
                                        ; =>      This Loop Header: Depth=4
                                        ;           Child Loop BB6_450 Depth 5
                                        ;           Child Loop BB6_482 Depth 5
	v_and_b32_e32 v9, 12, v97
	s_mov_b32 s30, -1
	s_mov_b32 vcc_hi, exec_lo
	s_delay_alu instid0(VALU_DEP_1)
	v_cmpx_ne_u32_e32 0, v9
	s_cbranch_execz .LBB6_458
; %bb.445:                              ;   in Loop: Header=BB6_444 Depth=4
	v_and_b32_e32 v9, 8, v97
	v_mov_b32_e32 v27, 1
	s_mov_b32 s30, exec_lo
	s_delay_alu instid0(VALU_DEP_2) | instskip(SKIP_3) | instid1(VALU_DEP_1)
	v_add_co_u32 v54, vcc_lo, v22, v9
	v_add_co_ci_u32_e32 v55, vcc_lo, 0, v23, vcc_lo
	v_add_co_u32 v52, vcc_lo, v18, 2
	v_add_co_ci_u32_e32 v53, vcc_lo, 0, v19, vcc_lo
	v_cmpx_lt_u64_e64 v[54:55], v[52:53]
	s_cbranch_execz .LBB6_457
; %bb.446:                              ;   in Loop: Header=BB6_444 Depth=4
	v_mov_b32_e32 v27, 0
	s_mov_b32 s31, 0
                                        ; implicit-def: $sgpr34
	s_branch .LBB6_450
.LBB6_447:                              ;   in Loop: Header=BB6_450 Depth=5
	s_or_b32 exec_lo, exec_lo, s38
	v_mov_b32_e32 v54, 0
	s_or_not1_b32 s37, s37, exec_lo
.LBB6_448:                              ;   in Loop: Header=BB6_450 Depth=5
	s_or_b32 exec_lo, exec_lo, s36
	s_delay_alu instid0(VALU_DEP_1) | instskip(SKIP_2) | instid1(SALU_CYCLE_1)
	v_mov_b32_e32 v27, v54
	s_and_not1_b32 vcc_lo, s34, exec_lo
	s_and_b32 s34, s37, exec_lo
	s_or_b32 s34, vcc_lo, s34
.LBB6_449:                              ;   in Loop: Header=BB6_450 Depth=5
	s_or_b32 exec_lo, exec_lo, s35
	s_waitcnt vmcnt(0) lgkmcnt(0)
	v_add_co_u32 v54, vcc_lo, v22, v9
	v_add_co_ci_u32_e32 v55, vcc_lo, 0, v23, vcc_lo
	s_xor_b32 s35, s34, -1
	s_delay_alu instid0(VALU_DEP_1) | instskip(SKIP_1) | instid1(SALU_CYCLE_1)
	v_cmp_ge_u64_e32 vcc_lo, v[54:55], v[52:53]
	s_or_b32 vcc_lo, s35, vcc_lo
	s_and_b32 vcc_lo, exec_lo, vcc_lo
	s_delay_alu instid0(SALU_CYCLE_1) | instskip(NEXT) | instid1(SALU_CYCLE_1)
	s_or_b32 s31, vcc_lo, s31
	s_and_not1_b32 exec_lo, exec_lo, s31
	s_cbranch_execz .LBB6_456
.LBB6_450:                              ;   Parent Loop BB6_65 Depth=1
                                        ;     Parent Loop BB6_101 Depth=2
                                        ;       Parent Loop BB6_299 Depth=3
                                        ;         Parent Loop BB6_444 Depth=4
                                        ; =>        This Inner Loop Header: Depth=5
	s_sleep 1
	flat_load_b64 v[22:23], v[16:17] glc
	v_and_b32_e32 v54, 64, v97
	s_and_not1_b32 s34, s34, exec_lo
	s_mov_b32 s35, exec_lo
	s_delay_alu instid0(VALU_DEP_1)
	v_cmpx_eq_u32_e32 0, v54
	s_cbranch_execz .LBB6_449
; %bb.451:                              ;   in Loop: Header=BB6_450 Depth=5
	v_add_nc_u32_e32 v54, 1, v27
	s_mov_b32 s37, -1
	s_mov_b32 s36, exec_lo
	v_cmpx_lt_i32_e32 0x270e, v27
	s_cbranch_execz .LBB6_448
; %bb.452:                              ;   in Loop: Header=BB6_450 Depth=5
	s_cbranch_execnz .LBB6_817
; %bb.453:                              ;   in Loop: Header=BB6_450 Depth=5
	ds_load_b64 v[54:55], v0
	s_mov_b32 s38, exec_lo
	s_waitcnt vmcnt(0) lgkmcnt(0)
	s_waitcnt_vscnt null, 0x0
	flat_load_b32 v27, v[54:55] glc
	s_waitcnt vmcnt(0) lgkmcnt(0)
	buffer_gl1_inv
	buffer_gl0_inv
	v_cmpx_ne_u32_e32 0, v27
	s_cbranch_execz .LBB6_447
; %bb.454:                              ;   in Loop: Header=BB6_450 Depth=5
	ds_store_b32 v0, v27
	s_cbranch_execnz .LBB6_859
; %bb.455:                              ;   in Loop: Header=BB6_450 Depth=5
	v_or_b32_e32 v97, 64, v97
	s_xor_b32 s37, exec_lo, -1
	s_branch .LBB6_447
.LBB6_456:                              ;   in Loop: Header=BB6_444 Depth=4
	s_or_b32 exec_lo, exec_lo, s31
	v_and_b32_e32 v27, 12, v97
.LBB6_457:                              ;   in Loop: Header=BB6_444 Depth=4
	s_or_b32 exec_lo, exec_lo, s30
	s_delay_alu instid0(VALU_DEP_1)
	v_cmp_eq_u32_e32 vcc_lo, 0, v27
	;;#ASMSTART
	s_wakeup
	;;#ASMEND
	s_or_not1_b32 s30, vcc_lo, exec_lo
.LBB6_458:                              ;   in Loop: Header=BB6_444 Depth=4
	s_or_b32 exec_lo, exec_lo, vcc_hi
	v_sub_nc_u32_e32 v9, v66, v68
	s_xor_b32 s11, s11, -1
	s_delay_alu instid0(SALU_CYCLE_1) | instskip(NEXT) | instid1(SALU_CYCLE_1)
	s_and_b32 s11, exec_lo, s11
	s_or_b32 s29, s11, s29
	s_delay_alu instid0(VALU_DEP_1) | instskip(SKIP_1) | instid1(SALU_CYCLE_1)
	v_min_i32_e32 v8, v8, v9
	s_xor_b32 s11, s30, -1
	s_and_saveexec_b32 vcc_hi, s11
	s_cbranch_execz .LBB6_473
; %bb.459:                              ;   in Loop: Header=BB6_444 Depth=4
	v_and_b32_e32 v9, 0x108, v97
	v_and_b32_e32 v27, 7, v18
	s_mov_b32 s11, exec_lo
	s_delay_alu instid0(VALU_DEP_2)
	v_cmpx_ne_u32_e32 0x108, v9
	s_xor_b32 s11, exec_lo, s11
                                        ; implicit-def: $vgpr52_vgpr53
; %bb.460:                              ;   in Loop: Header=BB6_444 Depth=4
	v_mov_b32_e32 v53, v26
; %bb.461:                              ;   in Loop: Header=BB6_444 Depth=4
	s_and_not1_saveexec_b32 s11, s11
	s_cbranch_execz .LBB6_463
; %bb.462:                              ;   in Loop: Header=BB6_444 Depth=4
	v_mad_u64_u32 v[54:55], null, v27, 24, v[4:5]
	v_ashrrev_i32_e32 v9, 31, v8
	v_mov_b32_e32 v53, v26
	flat_store_b64 v[54:55], v[8:9] offset:8
.LBB6_463:                              ;   in Loop: Header=BB6_444 Depth=4
	s_or_b32 exec_lo, exec_lo, s11
	v_and_b32_e32 v9, 0x100, v97
	s_mov_b32 s11, -1
	s_mov_b32 s30, exec_lo
                                        ; implicit-def: $vgpr54_vgpr55
	s_delay_alu instid0(VALU_DEP_1)
	v_cmpx_ne_u32_e32 0, v9
	s_cbranch_execnz .LBB6_466
; %bb.464:                              ;   in Loop: Header=BB6_444 Depth=4
	s_or_b32 exec_lo, exec_lo, s30
	s_and_saveexec_b32 vcc_lo, s11
	s_cbranch_execnz .LBB6_469
.LBB6_465:                              ;   in Loop: Header=BB6_444 Depth=4
	s_or_b32 exec_lo, exec_lo, vcc_lo
	s_cbranch_execnz .LBB6_813
	s_branch .LBB6_470
.LBB6_466:                              ;   in Loop: Header=BB6_444 Depth=4
	v_mad_u64_u32 v[64:65], null, v27, 24, v[4:5]
	s_mov_b32 s31, exec_lo
	s_delay_alu instid0(VALU_DEP_1) | instskip(NEXT) | instid1(VALU_DEP_1)
	v_mov_b32_e32 v9, v65
	v_mad_u64_u32 v[54:55], null, v53, 24, v[9:10]
	s_delay_alu instid0(VALU_DEP_1)
	v_mov_b32_e32 v65, v54
                                        ; implicit-def: $vgpr54_vgpr55
	flat_load_b32 v9, v[64:65]
	s_waitcnt vmcnt(0) lgkmcnt(0)
	v_cmp_ne_u32_e32 vcc_lo, 1, v9
	v_cmpx_eq_u32_e32 1, v9
	s_cbranch_execz .LBB6_468
; %bb.467:                              ;   in Loop: Header=BB6_444 Depth=4
	flat_load_b32 v54, v[64:65] offset:4 glc
	s_waitcnt vmcnt(0) lgkmcnt(0)
	v_ashrrev_i32_e32 v55, 31, v54
.LBB6_468:                              ;   in Loop: Header=BB6_444 Depth=4
	s_or_b32 exec_lo, exec_lo, s31
	s_delay_alu instid0(SALU_CYCLE_1)
	s_or_not1_b32 s11, vcc_lo, exec_lo
	s_or_b32 exec_lo, exec_lo, s30
	s_and_saveexec_b32 vcc_lo, s11
	s_cbranch_execz .LBB6_465
.LBB6_469:                              ;   in Loop: Header=BB6_444 Depth=4
	v_mul_lo_u32 v9, v53, v98
	v_mul_lo_u32 v52, v27, v128
	v_mad_u64_u32 v[54:55], null, v27, v98, 0
	s_delay_alu instid0(VALU_DEP_1)
	v_add3_u32 v55, v55, v52, v9
	s_or_b32 exec_lo, exec_lo, vcc_lo
	s_cbranch_execnz .LBB6_813
.LBB6_470:                              ;   in Loop: Header=BB6_444 Depth=4
	s_delay_alu instid0(VALU_DEP_2)
	v_add_co_u32 v52, vcc_lo, v20, v54
	v_and_b32_e32 v9, 0x2000, v97
	v_add_co_ci_u32_e32 v53, vcc_lo, v21, v55, vcc_lo
	s_mov_b32 s11, exec_lo
	ds_store_b64 v0, v[52:53]
	v_cmpx_ne_u32_e32 0, v9
	s_cbranch_execz .LBB6_472
; %bb.471:                              ;   in Loop: Header=BB6_444 Depth=4
	ds_load_b64 v[52:53], v0 offset:584
	s_waitcnt lgkmcnt(0)
	v_add_co_u32 v52, vcc_lo, v52, 1
	v_add_co_ci_u32_e32 v53, vcc_lo, 0, v53, vcc_lo
	ds_store_b64 v0, v[52:53] offset:584
.LBB6_472:                              ;   in Loop: Header=BB6_444 Depth=4
	s_or_b32 exec_lo, exec_lo, s11
	v_add_co_u32 v18, vcc_lo, v18, 2
	v_add_co_ci_u32_e32 v19, vcc_lo, 0, v19, vcc_lo
.LBB6_473:                              ;   in Loop: Header=BB6_444 Depth=4
	s_or_b32 exec_lo, exec_lo, vcc_hi
	s_and_saveexec_b32 s11, s4
	s_cbranch_execz .LBB6_495
; %bb.474:                              ;   in Loop: Header=BB6_444 Depth=4
	s_and_saveexec_b32 vcc_lo, s5
	s_delay_alu instid0(SALU_CYCLE_1)
	s_xor_b32 vcc_hi, exec_lo, vcc_lo
	s_cbranch_execz .LBB6_492
; %bb.475:                              ;   in Loop: Header=BB6_444 Depth=4
	s_and_saveexec_b32 s30, s2
	s_cbranch_execz .LBB6_491
; %bb.476:                              ;   in Loop: Header=BB6_444 Depth=4
	s_mov_b32 s34, exec_lo
	s_mov_b32 s31, exec_lo
	v_mbcnt_lo_u32_b32 v9, s34, 0
	s_waitcnt lgkmcnt(0)
	s_waitcnt_vscnt null, 0x0
	buffer_gl1_inv
	buffer_gl0_inv
	v_cmpx_eq_u32_e32 0, v9
	s_cbranch_execz .LBB6_478
; %bb.477:                              ;   in Loop: Header=BB6_444 Depth=4
	s_bcnt1_i32_b32 vcc_lo, s34
	s_delay_alu instid0(SALU_CYCLE_1)
	v_dual_mov_b32 v53, v26 :: v_dual_mov_b32 v52, vcc_lo
	ds_add_u64 v0, v[52:53]
	s_cbranch_execnz .LBB6_889
.LBB6_478:                              ;   in Loop: Header=BB6_444 Depth=4
	s_or_b32 exec_lo, exec_lo, s31
	s_cbranch_execnz .LBB6_875
; %bb.479:                              ;   in Loop: Header=BB6_444 Depth=4
	ds_load_b64 v[52:53], v0
	v_add_co_u32 v10, vcc_lo, v10, v100
	v_add_co_ci_u32_e32 v11, vcc_lo, 0, v11, vcc_lo
	s_mov_b32 s31, exec_lo
	s_waitcnt lgkmcnt(0)
	s_delay_alu instid0(VALU_DEP_1)
	v_cmpx_lt_u64_e64 v[52:53], v[10:11]
	s_cbranch_execz .LBB6_490
; %bb.480:                              ;   in Loop: Header=BB6_444 Depth=4
	s_mov_b32 s34, 0
	s_mov_b32 s37, 0
                                        ; implicit-def: $sgpr35
                                        ; implicit-def: $sgpr36
	s_branch .LBB6_482
.LBB6_481:                              ;   in Loop: Header=BB6_482 Depth=5
	s_or_b32 exec_lo, exec_lo, s39
	s_delay_alu instid0(SALU_CYCLE_1) | instskip(NEXT) | instid1(SALU_CYCLE_1)
	s_and_b32 vcc_lo, exec_lo, vcc_lo
	s_or_b32 s34, vcc_lo, s34
	s_and_not1_b32 vcc_lo, s35, exec_lo
	s_and_b32 s35, s36, exec_lo
	s_delay_alu instid0(SALU_CYCLE_1)
	s_or_b32 s35, vcc_lo, s35
	s_and_not1_b32 exec_lo, exec_lo, s34
	s_cbranch_execz .LBB6_488
.LBB6_482:                              ;   Parent Loop BB6_65 Depth=1
                                        ;     Parent Loop BB6_101 Depth=2
                                        ;       Parent Loop BB6_299 Depth=3
                                        ;         Parent Loop BB6_444 Depth=4
                                        ; =>        This Inner Loop Header: Depth=5
	s_add_i32 s37, s37, 1
                                        ; implicit-def: $sgpr39
	s_delay_alu instid0(SALU_CYCLE_1) | instskip(SKIP_1) | instid1(SALU_CYCLE_1)
	s_cmpk_lg_i32 s37, 0x2710
	s_cselect_b32 s38, -1, 0
	s_and_b32 vcc_lo, exec_lo, s38
	s_cbranch_vccz .LBB6_486
.LBB6_483:                              ;   in Loop: Header=BB6_482 Depth=5
	s_and_not1_b32 s36, s36, exec_lo
	s_and_b32 s39, s39, exec_lo
	s_mov_b32 vcc_lo, -1
	s_or_b32 s36, s36, s39
	s_and_saveexec_b32 s39, s38
	s_cbranch_execz .LBB6_481
; %bb.484:                              ;   in Loop: Header=BB6_482 Depth=5
	s_sleep 1
	s_cbranch_execnz .LBB6_915
; %bb.485:                              ;   in Loop: Header=BB6_482 Depth=5
	ds_load_b64 v[52:53], v0
	s_and_not1_b32 s36, s36, exec_lo
	s_waitcnt lgkmcnt(0)
	v_cmp_ge_u64_e32 vcc_lo, v[52:53], v[10:11]
	s_or_not1_b32 vcc_lo, vcc_lo, exec_lo
	s_branch .LBB6_481
.LBB6_486:                              ;   in Loop: Header=BB6_482 Depth=5
	s_cbranch_execnz .LBB6_929
; %bb.487:                              ;   in Loop: Header=BB6_482 Depth=5
	ds_load_b64 v[52:53], v0
	s_and_not1_b32 s38, s38, exec_lo
	s_mov_b32 s37, 0
	s_mov_b32 s39, -1
	s_waitcnt lgkmcnt(0)
	flat_load_b32 v9, v[52:53] glc
	s_waitcnt vmcnt(0) lgkmcnt(0)
	buffer_gl1_inv
	buffer_gl0_inv
	v_cmp_eq_u32_e32 vcc_lo, 0, v9
	s_and_b32 vcc_lo, vcc_lo, exec_lo
	s_delay_alu instid0(SALU_CYCLE_1)
	s_or_b32 s38, s38, vcc_lo
	s_branch .LBB6_483
.LBB6_488:                              ;   in Loop: Header=BB6_444 Depth=4
	s_or_b32 exec_lo, exec_lo, s34
	s_and_saveexec_b32 vcc_lo, s35
	s_delay_alu instid0(SALU_CYCLE_1)
	s_xor_b32 vcc_lo, exec_lo, vcc_lo
	s_cbranch_execz .LBB6_490
; %bb.489:                              ;   in Loop: Header=BB6_444 Depth=4
	ds_store_b32 v0, v131
	s_cbranch_execnz .LBB6_975
.LBB6_490:                              ;   in Loop: Header=BB6_444 Depth=4
	s_or_b32 exec_lo, exec_lo, s31
	;;#ASMSTART
	s_wakeup
	;;#ASMEND
.LBB6_491:                              ;   in Loop: Header=BB6_444 Depth=4
	s_or_b32 exec_lo, exec_lo, s30
.LBB6_492:                              ;   in Loop: Header=BB6_444 Depth=4
	s_and_not1_saveexec_b32 vcc_lo, vcc_hi
	s_cbranch_execz .LBB6_494
; %bb.493:                              ;   in Loop: Header=BB6_444 Depth=4
	s_waitcnt lgkmcnt(0)
	s_waitcnt_vscnt null, 0x0
	buffer_gl1_inv
	buffer_gl0_inv
	s_barrier
.LBB6_494:                              ;   in Loop: Header=BB6_444 Depth=4
	s_or_b32 exec_lo, exec_lo, vcc_lo
.LBB6_495:                              ;   in Loop: Header=BB6_444 Depth=4
	s_delay_alu instid0(SALU_CYCLE_1)
	s_or_b32 exec_lo, exec_lo, s11
	s_cbranch_execnz .LBB6_805
; %bb.496:                              ;   in Loop: Header=BB6_444 Depth=4
	ds_load_b32 v9, v0
	v_cmp_lt_i32_e32 vcc_lo, 0, v8
	s_waitcnt lgkmcnt(0)
	v_readfirstlane_b32 s11, v9
	v_and_b32_e32 v9, 16, v97
	s_delay_alu instid0(VALU_DEP_2) | instskip(NEXT) | instid1(VALU_DEP_1)
	s_cmp_eq_u32 s11, 0
	v_cmp_ne_u32_e64 s11, 0, v9
	s_cselect_b32 vcc_hi, -1, 0
	s_delay_alu instid0(SALU_CYCLE_1)
	s_and_b32 vcc_lo, vcc_lo, vcc_hi
	s_delay_alu instid0(VALU_DEP_1) | instid1(SALU_CYCLE_1)
	s_and_b32 vcc_lo, s11, vcc_lo
	s_delay_alu instid0(SALU_CYCLE_1)
	s_and_saveexec_b32 s11, vcc_lo
	s_cbranch_execz .LBB6_498
; %bb.497:                              ;   in Loop: Header=BB6_444 Depth=4
	s_waitcnt_vscnt null, 0x0
	buffer_gl1_inv
	buffer_gl0_inv
.LBB6_498:                              ;   in Loop: Header=BB6_444 Depth=4
	s_or_b32 exec_lo, exec_lo, s11
	v_cmp_ne_u32_e32 vcc_lo, 0, v9
	s_xor_b32 s11, s7, -1
	s_delay_alu instid0(SALU_CYCLE_1) | instskip(NEXT) | instid1(SALU_CYCLE_1)
	s_and_b32 vcc_lo, vcc_lo, s11
	s_and_saveexec_b32 s11, vcc_lo
	s_cbranch_execz .LBB6_500
; %bb.499:                              ;   in Loop: Header=BB6_444 Depth=4
	s_waitcnt_vscnt null, 0x0
	flat_store_b32 v[24:25], v131
.LBB6_500:                              ;   in Loop: Header=BB6_444 Depth=4
	s_or_b32 exec_lo, exec_lo, s11
	v_and_b32_e32 v9, 48, v97
	s_mov_b32 s11, exec_lo
	s_delay_alu instid0(VALU_DEP_1)
	v_cmpx_ne_u32_e32 0, v9
	s_cbranch_execz .LBB6_502
; %bb.501:                              ;   in Loop: Header=BB6_444 Depth=4
	v_add_co_u32 v18, vcc_lo, v18, 2
	v_add_co_ci_u32_e32 v19, vcc_lo, 0, v19, vcc_lo
	s_waitcnt lgkmcnt(0)
	s_waitcnt_vscnt null, 0x0
	flat_store_b64 v[16:17], v[18:19]
.LBB6_502:                              ;   in Loop: Header=BB6_444 Depth=4
	s_or_b32 exec_lo, exec_lo, s11
	v_add_nc_u32_e32 v68, v8, v68
	s_mov_b32 s11, 0
	s_and_not1_b32 exec_lo, exec_lo, s29
	s_cbranch_execnz .LBB6_444
; %bb.503:                              ;   in Loop: Header=BB6_299 Depth=3
	s_or_b32 exec_lo, exec_lo, s29
.LBB6_504:                              ;   in Loop: Header=BB6_299 Depth=3
	s_delay_alu instid0(SALU_CYCLE_1) | instskip(SKIP_1) | instid1(SALU_CYCLE_1)
	s_or_b32 exec_lo, exec_lo, s12
	s_add_i32 s28, s28, 1
	s_cmp_ge_i32 s28, s24
	s_cbranch_scc0 .LBB6_299
.LBB6_505:                              ;   in Loop: Header=BB6_101 Depth=2
	v_add_co_u32 v64, vcc_lo, v6, v134
	v_add_co_ci_u32_e32 v65, vcc_lo, v7, v135, vcc_lo
	s_mov_b32 s28, 0
	s_delay_alu instid0(VALU_DEP_2) | instskip(SKIP_1) | instid1(VALU_DEP_2)
	v_max_i32_e32 v27, 0, v64
	v_cmp_lt_i32_e32 vcc_lo, 0, v64
	v_dual_mov_b32 v55, 0 :: v_dual_add_nc_u32 v8, 31, v27
	s_and_b32 s11, s21, vcc_lo
	s_delay_alu instid0(VALU_DEP_1) | instskip(NEXT) | instid1(VALU_DEP_1)
	v_lshrrev_b32_e32 v8, 1, v8
	v_dual_mov_b32 v8, 0 :: v_dual_and_b32 v9, 0x3ffffff0, v8
	s_delay_alu instid0(VALU_DEP_1)
	v_max_i32_e32 v54, s19, v9
	s_and_saveexec_b32 s27, s11
	s_cbranch_execz .LBB6_642
; %bb.506:                              ;   in Loop: Header=BB6_101 Depth=2
	v_mov_b32_e32 v55, 0
	s_mov_b32 vcc_hi, 1
	s_mov_b32 s29, -1
.LBB6_507:                              ;   Parent Loop BB6_65 Depth=1
                                        ;     Parent Loop BB6_101 Depth=2
                                        ; =>    This Loop Header: Depth=3
                                        ;         Child Loop BB6_516 Depth 4
                                        ;         Child Loop BB6_543 Depth 4
	;; [unrolled: 1-line block ×8, first 2 shown]
	s_and_saveexec_b32 s12, s0
	s_cbranch_execz .LBB6_510
; %bb.508:                              ;   in Loop: Header=BB6_507 Depth=3
	s_cbranch_execnz .LBB6_795
; %bb.509:                              ;   in Loop: Header=BB6_507 Depth=3
	ds_load_b128 v[66:69], v0
	v_ashrrev_i32_e32 v9, 31, v55
	s_waitcnt lgkmcnt(0)
	v_add_co_u32 v8, vcc_lo, v68, v64
	v_add_co_ci_u32_e32 v52, vcc_lo, v69, v65, vcc_lo
	v_add_co_u32 v53, vcc_lo, v66, v64
	v_add_co_ci_u32_e32 v66, vcc_lo, v67, v65, vcc_lo
	s_delay_alu instid0(VALU_DEP_4) | instskip(NEXT) | instid1(VALU_DEP_4)
	v_add_co_u32 v67, vcc_lo, v8, v55
	v_add_co_ci_u32_e32 v52, vcc_lo, v52, v9, vcc_lo
	v_cmp_ne_u64_e32 vcc_lo, 0, v[68:69]
	v_add_co_u32 v8, s11, v53, v55
	s_delay_alu instid0(VALU_DEP_1) | instskip(NEXT) | instid1(VALU_DEP_4)
	v_add_co_ci_u32_e64 v9, s11, v66, v9, s11
	v_dual_cndmask_b32 v53, 0, v52 :: v_dual_cndmask_b32 v52, 0, v67
	ds_store_b64 v0, v[8:9]
	ds_store_b64 v0, v[52:53]
.LBB6_510:                              ;   in Loop: Header=BB6_507 Depth=3
	s_or_b32 exec_lo, exec_lo, s12
	v_and_b32_e32 v8, 4, v97
	s_mov_b32 s12, -1
	s_mov_b32 s11, exec_lo
	s_delay_alu instid0(VALU_DEP_1)
	v_cmpx_ne_u32_e32 0, v8
	s_cbranch_execz .LBB6_524
; %bb.511:                              ;   in Loop: Header=BB6_507 Depth=3
	v_add_co_u32 v8, vcc_lo, v18, 2
	v_add_co_ci_u32_e32 v9, vcc_lo, 0, v19, vcc_lo
	v_mov_b32_e32 v52, 1
	s_mov_b32 s12, exec_lo
	s_delay_alu instid0(VALU_DEP_2)
	v_cmpx_lt_u64_e64 v[22:23], v[8:9]
	s_cbranch_execz .LBB6_523
; %bb.512:                              ;   in Loop: Header=BB6_507 Depth=3
	v_mov_b32_e32 v52, 0
	s_mov_b32 s30, 0
                                        ; implicit-def: $sgpr31
	s_branch .LBB6_516
.LBB6_513:                              ;   in Loop: Header=BB6_516 Depth=4
	s_or_b32 exec_lo, exec_lo, s37
	v_mov_b32_e32 v53, 0
	s_or_not1_b32 s36, s36, exec_lo
.LBB6_514:                              ;   in Loop: Header=BB6_516 Depth=4
	s_or_b32 exec_lo, exec_lo, s35
	s_delay_alu instid0(VALU_DEP_1) | instskip(SKIP_2) | instid1(SALU_CYCLE_1)
	v_mov_b32_e32 v52, v53
	s_and_not1_b32 vcc_lo, s31, exec_lo
	s_and_b32 s31, s36, exec_lo
	s_or_b32 s31, vcc_lo, s31
.LBB6_515:                              ;   in Loop: Header=BB6_516 Depth=4
	s_or_b32 exec_lo, exec_lo, s34
	s_waitcnt vmcnt(0) lgkmcnt(0)
	v_cmp_ge_u64_e32 vcc_lo, v[22:23], v[8:9]
	s_xor_b32 s34, s31, -1
	s_delay_alu instid0(SALU_CYCLE_1) | instskip(NEXT) | instid1(SALU_CYCLE_1)
	s_or_b32 vcc_lo, s34, vcc_lo
	s_and_b32 vcc_lo, exec_lo, vcc_lo
	s_delay_alu instid0(SALU_CYCLE_1) | instskip(NEXT) | instid1(SALU_CYCLE_1)
	s_or_b32 s30, vcc_lo, s30
	s_and_not1_b32 exec_lo, exec_lo, s30
	s_cbranch_execz .LBB6_522
.LBB6_516:                              ;   Parent Loop BB6_65 Depth=1
                                        ;     Parent Loop BB6_101 Depth=2
                                        ;       Parent Loop BB6_507 Depth=3
                                        ; =>      This Inner Loop Header: Depth=4
	s_sleep 1
	flat_load_b64 v[22:23], v[16:17] glc
	v_and_b32_e32 v53, 64, v97
	s_and_not1_b32 s31, s31, exec_lo
	s_mov_b32 s34, exec_lo
	s_delay_alu instid0(VALU_DEP_1)
	v_cmpx_eq_u32_e32 0, v53
	s_cbranch_execz .LBB6_515
; %bb.517:                              ;   in Loop: Header=BB6_516 Depth=4
	v_add_nc_u32_e32 v53, 1, v52
	s_mov_b32 s36, -1
	s_mov_b32 s35, exec_lo
	v_cmpx_lt_i32_e32 0x270e, v52
	s_cbranch_execz .LBB6_514
; %bb.518:                              ;   in Loop: Header=BB6_516 Depth=4
	s_cbranch_execnz .LBB6_821
; %bb.519:                              ;   in Loop: Header=BB6_516 Depth=4
	ds_load_b64 v[52:53], v0
	s_mov_b32 s37, exec_lo
	s_waitcnt vmcnt(0) lgkmcnt(0)
	s_waitcnt_vscnt null, 0x0
	flat_load_b32 v52, v[52:53] glc
	s_waitcnt vmcnt(0) lgkmcnt(0)
	buffer_gl1_inv
	buffer_gl0_inv
	v_cmpx_ne_u32_e32 0, v52
	s_cbranch_execz .LBB6_513
; %bb.520:                              ;   in Loop: Header=BB6_516 Depth=4
	ds_store_b32 v0, v52
	s_cbranch_execnz .LBB6_861
; %bb.521:                              ;   in Loop: Header=BB6_516 Depth=4
	v_or_b32_e32 v97, 64, v97
	s_xor_b32 s36, exec_lo, -1
	s_branch .LBB6_513
.LBB6_522:                              ;   in Loop: Header=BB6_507 Depth=3
	s_or_b32 exec_lo, exec_lo, s30
	v_and_b32_e32 v52, 4, v97
.LBB6_523:                              ;   in Loop: Header=BB6_507 Depth=3
	s_or_b32 exec_lo, exec_lo, s12
	s_delay_alu instid0(VALU_DEP_1)
	v_cmp_eq_u32_e32 vcc_lo, 0, v52
	;;#ASMSTART
	s_wakeup
	;;#ASMEND
	s_or_not1_b32 s12, vcc_lo, exec_lo
.LBB6_524:                              ;   in Loop: Header=BB6_507 Depth=3
	s_or_b32 exec_lo, exec_lo, s11
	s_xor_b32 s11, s12, -1
	s_delay_alu instid0(SALU_CYCLE_1)
	s_and_saveexec_b32 s12, s11
	s_cbranch_execz .LBB6_534
; %bb.525:                              ;   in Loop: Header=BB6_507 Depth=3
	v_and_b32_e32 v8, 0x100, v97
	v_and_b32_e32 v66, 7, v18
	s_mov_b32 s11, -1
	s_delay_alu instid0(VALU_DEP_2)
	v_cmp_ne_u32_e32 vcc_lo, 0, v8
                                        ; implicit-def: $vgpr8_vgpr9
	s_and_saveexec_b32 s30, vcc_lo
	s_cbranch_execz .LBB6_529
; %bb.526:                              ;   in Loop: Header=BB6_507 Depth=3
	v_mad_u64_u32 v[52:53], null, v66, 24, v[4:5]
	flat_load_b32 v8, v[52:53]
	s_waitcnt vmcnt(0) lgkmcnt(0)
	v_cmp_ne_u32_e32 vcc_lo, 1, v8
	v_cmp_eq_u32_e64 s11, 1, v8
                                        ; implicit-def: $vgpr8_vgpr9
	s_delay_alu instid0(VALU_DEP_1)
	s_and_saveexec_b32 s31, s11
	s_cbranch_execz .LBB6_528
; %bb.527:                              ;   in Loop: Header=BB6_507 Depth=3
	flat_load_b32 v8, v[52:53] offset:4 glc
	s_waitcnt vmcnt(0) lgkmcnt(0)
	v_ashrrev_i32_e32 v9, 31, v8
.LBB6_528:                              ;   in Loop: Header=BB6_507 Depth=3
	s_or_b32 exec_lo, exec_lo, s31
	s_delay_alu instid0(SALU_CYCLE_1)
	s_or_not1_b32 s11, vcc_lo, exec_lo
.LBB6_529:                              ;   in Loop: Header=BB6_507 Depth=3
	s_or_b32 exec_lo, exec_lo, s30
	s_and_saveexec_b32 vcc_lo, s11
; %bb.530:                              ;   in Loop: Header=BB6_507 Depth=3
	v_mad_i64_i32 v[8:9], null, v66, v98, 0
; %bb.531:                              ;   in Loop: Header=BB6_507 Depth=3
	s_or_b32 exec_lo, exec_lo, vcc_lo
	s_delay_alu instid0(VALU_DEP_1) | instskip(SKIP_1) | instid1(VALU_DEP_3)
	v_add_co_u32 v8, vcc_lo, v20, v8
	v_and_b32_e32 v52, 0x2000, v97
	v_add_co_ci_u32_e32 v9, vcc_lo, v21, v9, vcc_lo
	s_mov_b32 s11, exec_lo
	ds_store_b64 v0, v[8:9] offset:720
	v_cmpx_ne_u32_e32 0, v52
	s_cbranch_execz .LBB6_533
; %bb.532:                              ;   in Loop: Header=BB6_507 Depth=3
	ds_load_b64 v[8:9], v0 offset:584
	s_waitcnt lgkmcnt(0)
	v_add_co_u32 v8, vcc_lo, v8, 1
	v_add_co_ci_u32_e32 v9, vcc_lo, 0, v9, vcc_lo
	ds_store_b64 v0, v[8:9] offset:584
.LBB6_533:                              ;   in Loop: Header=BB6_507 Depth=3
	s_or_b32 exec_lo, exec_lo, s11
	v_add_co_u32 v18, vcc_lo, v18, 2
	v_add_co_ci_u32_e32 v19, vcc_lo, 0, v19, vcc_lo
.LBB6_534:                              ;   in Loop: Header=BB6_507 Depth=3
	s_or_b32 exec_lo, exec_lo, s12
	s_and_saveexec_b32 s11, s4
	s_cbranch_execz .LBB6_556
; %bb.535:                              ;   in Loop: Header=BB6_507 Depth=3
	s_and_saveexec_b32 s12, s5
	s_delay_alu instid0(SALU_CYCLE_1)
	s_xor_b32 s12, exec_lo, s12
	s_cbranch_execz .LBB6_553
; %bb.536:                              ;   in Loop: Header=BB6_507 Depth=3
	s_and_saveexec_b32 s30, s2
	s_cbranch_execz .LBB6_552
; %bb.537:                              ;   in Loop: Header=BB6_507 Depth=3
	s_mov_b32 s34, exec_lo
	s_mov_b32 s31, exec_lo
	v_mbcnt_lo_u32_b32 v8, s34, 0
	s_waitcnt lgkmcnt(0)
	s_waitcnt_vscnt null, 0x0
	buffer_gl1_inv
	buffer_gl0_inv
	v_cmpx_eq_u32_e32 0, v8
	s_cbranch_execz .LBB6_539
; %bb.538:                              ;   in Loop: Header=BB6_507 Depth=3
	s_bcnt1_i32_b32 vcc_lo, s34
	s_delay_alu instid0(SALU_CYCLE_1)
	v_dual_mov_b32 v9, v26 :: v_dual_mov_b32 v8, vcc_lo
	ds_add_u64 v0, v[8:9]
	s_cbranch_execnz .LBB6_881
.LBB6_539:                              ;   in Loop: Header=BB6_507 Depth=3
	s_or_b32 exec_lo, exec_lo, s31
	s_cbranch_execnz .LBB6_865
; %bb.540:                              ;   in Loop: Header=BB6_507 Depth=3
	ds_load_b64 v[8:9], v0
	v_add_co_u32 v10, vcc_lo, v10, v100
	v_add_co_ci_u32_e32 v11, vcc_lo, 0, v11, vcc_lo
	s_mov_b32 s31, exec_lo
	s_waitcnt lgkmcnt(0)
	s_delay_alu instid0(VALU_DEP_1)
	v_cmpx_lt_u64_e64 v[8:9], v[10:11]
	s_cbranch_execz .LBB6_551
; %bb.541:                              ;   in Loop: Header=BB6_507 Depth=3
	s_mov_b32 s34, 0
	s_mov_b32 s37, 0
                                        ; implicit-def: $sgpr35
                                        ; implicit-def: $sgpr36
	s_branch .LBB6_543
.LBB6_542:                              ;   in Loop: Header=BB6_543 Depth=4
	s_or_b32 exec_lo, exec_lo, s39
	s_delay_alu instid0(SALU_CYCLE_1) | instskip(NEXT) | instid1(SALU_CYCLE_1)
	s_and_b32 vcc_lo, exec_lo, vcc_lo
	s_or_b32 s34, vcc_lo, s34
	s_and_not1_b32 vcc_lo, s35, exec_lo
	s_and_b32 s35, s36, exec_lo
	s_delay_alu instid0(SALU_CYCLE_1)
	s_or_b32 s35, vcc_lo, s35
	s_and_not1_b32 exec_lo, exec_lo, s34
	s_cbranch_execz .LBB6_549
.LBB6_543:                              ;   Parent Loop BB6_65 Depth=1
                                        ;     Parent Loop BB6_101 Depth=2
                                        ;       Parent Loop BB6_507 Depth=3
                                        ; =>      This Inner Loop Header: Depth=4
	s_add_i32 s37, s37, 1
                                        ; implicit-def: $sgpr39
	s_delay_alu instid0(SALU_CYCLE_1) | instskip(SKIP_1) | instid1(SALU_CYCLE_1)
	s_cmpk_lg_i32 s37, 0x2710
	s_cselect_b32 s38, -1, 0
	s_and_b32 vcc_lo, exec_lo, s38
	s_cbranch_vccz .LBB6_547
.LBB6_544:                              ;   in Loop: Header=BB6_543 Depth=4
	s_and_not1_b32 s36, s36, exec_lo
	s_and_b32 s39, s39, exec_lo
	s_mov_b32 vcc_lo, -1
	s_or_b32 s36, s36, s39
	s_and_saveexec_b32 s39, s38
	s_cbranch_execz .LBB6_542
; %bb.545:                              ;   in Loop: Header=BB6_543 Depth=4
	s_sleep 1
	s_cbranch_execnz .LBB6_905
; %bb.546:                              ;   in Loop: Header=BB6_543 Depth=4
	ds_load_b64 v[8:9], v0
	s_and_not1_b32 s36, s36, exec_lo
	s_waitcnt lgkmcnt(0)
	v_cmp_ge_u64_e32 vcc_lo, v[8:9], v[10:11]
	s_or_not1_b32 vcc_lo, vcc_lo, exec_lo
	s_branch .LBB6_542
.LBB6_547:                              ;   in Loop: Header=BB6_543 Depth=4
	s_cbranch_execnz .LBB6_917
; %bb.548:                              ;   in Loop: Header=BB6_543 Depth=4
	ds_load_b64 v[8:9], v0
	s_and_not1_b32 s38, s38, exec_lo
	s_mov_b32 s37, 0
	s_mov_b32 s39, -1
	s_waitcnt lgkmcnt(0)
	flat_load_b32 v8, v[8:9] glc
	s_waitcnt vmcnt(0) lgkmcnt(0)
	buffer_gl1_inv
	buffer_gl0_inv
	v_cmp_eq_u32_e32 vcc_lo, 0, v8
	s_and_b32 vcc_lo, vcc_lo, exec_lo
	s_delay_alu instid0(SALU_CYCLE_1)
	s_or_b32 s38, s38, vcc_lo
	s_branch .LBB6_544
.LBB6_549:                              ;   in Loop: Header=BB6_507 Depth=3
	s_or_b32 exec_lo, exec_lo, s34
	s_and_saveexec_b32 vcc_lo, s35
	s_delay_alu instid0(SALU_CYCLE_1)
	s_xor_b32 vcc_lo, exec_lo, vcc_lo
	s_cbranch_execz .LBB6_551
; %bb.550:                              ;   in Loop: Header=BB6_507 Depth=3
	ds_store_b32 v0, v131
	s_cbranch_execnz .LBB6_969
.LBB6_551:                              ;   in Loop: Header=BB6_507 Depth=3
	s_or_b32 exec_lo, exec_lo, s31
	;;#ASMSTART
	s_wakeup
	;;#ASMEND
.LBB6_552:                              ;   in Loop: Header=BB6_507 Depth=3
	s_or_b32 exec_lo, exec_lo, s30
.LBB6_553:                              ;   in Loop: Header=BB6_507 Depth=3
	s_and_not1_saveexec_b32 s12, s12
	s_cbranch_execz .LBB6_555
; %bb.554:                              ;   in Loop: Header=BB6_507 Depth=3
	s_waitcnt lgkmcnt(0)
	s_waitcnt_vscnt null, 0x0
	buffer_gl1_inv
	buffer_gl0_inv
	s_barrier
.LBB6_555:                              ;   in Loop: Header=BB6_507 Depth=3
	s_or_b32 exec_lo, exec_lo, s12
.LBB6_556:                              ;   in Loop: Header=BB6_507 Depth=3
	s_delay_alu instid0(SALU_CYCLE_1)
	s_or_b32 exec_lo, exec_lo, s11
	s_cbranch_execnz .LBB6_791
; %bb.557:                              ;   in Loop: Header=BB6_507 Depth=3
	ds_load_b32 v8, v0
	v_and_b32_e32 v9, 0x4000, v97
	s_xor_b32 s11, s3, -1
	s_delay_alu instid0(VALU_DEP_1) | instskip(SKIP_1) | instid1(SALU_CYCLE_1)
	v_cmp_ne_u32_e32 vcc_lo, 0, v9
	s_and_b32 s12, s11, vcc_lo
	s_and_saveexec_b32 s11, s12
	s_cbranch_execz .LBB6_579
; %bb.558:                              ;   in Loop: Header=BB6_507 Depth=3
	s_and_saveexec_b32 s12, s5
	s_delay_alu instid0(SALU_CYCLE_1)
	s_xor_b32 s12, exec_lo, s12
	s_cbranch_execz .LBB6_576
; %bb.559:                              ;   in Loop: Header=BB6_507 Depth=3
	s_and_saveexec_b32 s30, s2
	s_cbranch_execz .LBB6_575
; %bb.560:                              ;   in Loop: Header=BB6_507 Depth=3
	s_mov_b32 s34, exec_lo
	s_mov_b32 s31, exec_lo
	v_mbcnt_lo_u32_b32 v9, s34, 0
	s_waitcnt lgkmcnt(0)
	s_waitcnt_vscnt null, 0x0
	buffer_gl1_inv
	buffer_gl0_inv
	v_cmpx_eq_u32_e32 0, v9
	s_cbranch_execz .LBB6_562
; %bb.561:                              ;   in Loop: Header=BB6_507 Depth=3
	s_bcnt1_i32_b32 vcc_lo, s34
	s_delay_alu instid0(SALU_CYCLE_1)
	v_dual_mov_b32 v53, v26 :: v_dual_mov_b32 v52, vcc_lo
	ds_add_u64 v0, v[52:53]
	s_cbranch_execnz .LBB6_899
.LBB6_562:                              ;   in Loop: Header=BB6_507 Depth=3
	s_or_b32 exec_lo, exec_lo, s31
	s_cbranch_execnz .LBB6_891
; %bb.563:                              ;   in Loop: Header=BB6_507 Depth=3
	ds_load_b64 v[52:53], v0
	v_add_co_u32 v10, vcc_lo, v10, v100
	v_add_co_ci_u32_e32 v11, vcc_lo, 0, v11, vcc_lo
	s_mov_b32 s31, exec_lo
	s_waitcnt lgkmcnt(0)
	s_delay_alu instid0(VALU_DEP_1)
	v_cmpx_lt_u64_e64 v[52:53], v[10:11]
	s_cbranch_execz .LBB6_574
; %bb.564:                              ;   in Loop: Header=BB6_507 Depth=3
	s_mov_b32 s34, 0
	s_mov_b32 s37, 0
                                        ; implicit-def: $sgpr35
                                        ; implicit-def: $sgpr36
	s_branch .LBB6_566
.LBB6_565:                              ;   in Loop: Header=BB6_566 Depth=4
	s_or_b32 exec_lo, exec_lo, s39
	s_delay_alu instid0(SALU_CYCLE_1) | instskip(NEXT) | instid1(SALU_CYCLE_1)
	s_and_b32 vcc_lo, exec_lo, vcc_lo
	s_or_b32 s34, vcc_lo, s34
	s_and_not1_b32 vcc_lo, s35, exec_lo
	s_and_b32 s35, s36, exec_lo
	s_delay_alu instid0(SALU_CYCLE_1)
	s_or_b32 s35, vcc_lo, s35
	s_and_not1_b32 exec_lo, exec_lo, s34
	s_cbranch_execz .LBB6_572
.LBB6_566:                              ;   Parent Loop BB6_65 Depth=1
                                        ;     Parent Loop BB6_101 Depth=2
                                        ;       Parent Loop BB6_507 Depth=3
                                        ; =>      This Inner Loop Header: Depth=4
	s_add_i32 s37, s37, 1
                                        ; implicit-def: $sgpr39
	s_delay_alu instid0(SALU_CYCLE_1) | instskip(SKIP_1) | instid1(SALU_CYCLE_1)
	s_cmpk_lg_i32 s37, 0x2710
	s_cselect_b32 s38, -1, 0
	s_and_b32 vcc_lo, exec_lo, s38
	s_cbranch_vccz .LBB6_570
.LBB6_567:                              ;   in Loop: Header=BB6_566 Depth=4
	s_and_not1_b32 s36, s36, exec_lo
	s_and_b32 s39, s39, exec_lo
	s_mov_b32 vcc_lo, -1
	s_or_b32 s36, s36, s39
	s_and_saveexec_b32 s39, s38
	s_cbranch_execz .LBB6_565
; %bb.568:                              ;   in Loop: Header=BB6_566 Depth=4
	s_sleep 1
	s_cbranch_execnz .LBB6_933
; %bb.569:                              ;   in Loop: Header=BB6_566 Depth=4
	ds_load_b64 v[52:53], v0
	s_and_not1_b32 s36, s36, exec_lo
	s_waitcnt lgkmcnt(0)
	v_cmp_ge_u64_e32 vcc_lo, v[52:53], v[10:11]
	s_or_not1_b32 vcc_lo, vcc_lo, exec_lo
	s_branch .LBB6_565
.LBB6_570:                              ;   in Loop: Header=BB6_566 Depth=4
	s_cbranch_execnz .LBB6_941
; %bb.571:                              ;   in Loop: Header=BB6_566 Depth=4
	ds_load_b64 v[52:53], v0
	s_and_not1_b32 s38, s38, exec_lo
	s_mov_b32 s37, 0
	s_mov_b32 s39, -1
	s_waitcnt lgkmcnt(0)
	flat_load_b32 v9, v[52:53] glc
	s_waitcnt vmcnt(0) lgkmcnt(0)
	buffer_gl1_inv
	buffer_gl0_inv
	v_cmp_eq_u32_e32 vcc_lo, 0, v9
	s_and_b32 vcc_lo, vcc_lo, exec_lo
	s_delay_alu instid0(SALU_CYCLE_1)
	s_or_b32 s38, s38, vcc_lo
	s_branch .LBB6_567
.LBB6_572:                              ;   in Loop: Header=BB6_507 Depth=3
	s_or_b32 exec_lo, exec_lo, s34
	s_and_saveexec_b32 vcc_lo, s35
	s_delay_alu instid0(SALU_CYCLE_1)
	s_xor_b32 vcc_lo, exec_lo, vcc_lo
	s_cbranch_execz .LBB6_574
; %bb.573:                              ;   in Loop: Header=BB6_507 Depth=3
	ds_store_b32 v0, v131
	s_cbranch_execnz .LBB6_977
.LBB6_574:                              ;   in Loop: Header=BB6_507 Depth=3
	s_or_b32 exec_lo, exec_lo, s31
	;;#ASMSTART
	s_wakeup
	;;#ASMEND
.LBB6_575:                              ;   in Loop: Header=BB6_507 Depth=3
	s_or_b32 exec_lo, exec_lo, s30
.LBB6_576:                              ;   in Loop: Header=BB6_507 Depth=3
	s_and_not1_saveexec_b32 s12, s12
	s_cbranch_execz .LBB6_578
; %bb.577:                              ;   in Loop: Header=BB6_507 Depth=3
	s_waitcnt lgkmcnt(0)
	s_waitcnt_vscnt null, 0x0
	buffer_gl1_inv
	buffer_gl0_inv
	s_barrier
.LBB6_578:                              ;   in Loop: Header=BB6_507 Depth=3
	s_or_b32 exec_lo, exec_lo, s12
.LBB6_579:                              ;   in Loop: Header=BB6_507 Depth=3
	s_delay_alu instid0(SALU_CYCLE_1)
	s_or_b32 exec_lo, exec_lo, s11
	s_cbranch_execnz .LBB6_823
; %bb.580:                              ;   in Loop: Header=BB6_507 Depth=3
	ds_load_b64 v[52:53], v0
	v_sub_nc_u32_e32 v9, v27, v55
	v_mov_b32_e32 v66, 0
	s_delay_alu instid0(VALU_DEP_2) | instskip(SKIP_3) | instid1(SALU_CYCLE_1)
	v_min_i32_e32 v54, v54, v9
	s_waitcnt lgkmcnt(0)
	v_cmp_eq_u64_e32 vcc_lo, 0, v[52:53]
	s_or_b32 s11, vcc_lo, vcc_lo
	s_and_b32 vcc_lo, exec_lo, s11
	s_cbranch_vccnz .LBB6_614
; %bb.581:                              ;   in Loop: Header=BB6_507 Depth=3
	s_mov_b32 s11, -1
	s_and_saveexec_b32 s12, s6
	s_cbranch_execz .LBB6_583
; %bb.582:                              ;   in Loop: Header=BB6_507 Depth=3
	ds_load_b32 v9, v0 offset:720
	s_waitcnt lgkmcnt(0)
	v_and_b32_e32 v9, 15, v9
	s_delay_alu instid0(VALU_DEP_1)
	v_cmp_eq_u32_e32 vcc_lo, 0, v9
	s_or_not1_b32 s11, vcc_lo, exec_lo
.LBB6_583:                              ;   in Loop: Header=BB6_507 Depth=3
	s_or_b32 exec_lo, exec_lo, s12
	s_and_saveexec_b32 s12, s1
	s_cbranch_execz .LBB6_585
; %bb.584:                              ;   in Loop: Header=BB6_507 Depth=3
	ds_load_b32 v9, v0 offset:784
	s_waitcnt lgkmcnt(0)
	v_and_b32_e32 v9, 15, v9
	s_delay_alu instid0(VALU_DEP_1) | instskip(SKIP_3) | instid1(SALU_CYCLE_1)
	v_cmp_eq_u32_e32 vcc_lo, 0, v9
	s_and_b32 vcc_lo, s11, vcc_lo
	s_and_not1_b32 s11, s11, exec_lo
	s_and_b32 vcc_lo, vcc_lo, exec_lo
	s_or_b32 s11, s11, vcc_lo
.LBB6_585:                              ;   in Loop: Header=BB6_507 Depth=3
	s_or_b32 exec_lo, exec_lo, s12
	v_cmp_eq_u32_e32 vcc_lo, 0, v8
	s_xor_b32 s11, s11, -1
	v_mov_b32_e32 v80, v36
	v_cndmask_b32_e64 v9, 0, 1, s11
	;;#ASMSTART
	;;#ASMEND
	v_dual_cndmask_b32 v66, 0, v54 :: v_dual_mov_b32 v67, 0
	s_delay_alu instid0(VALU_DEP_2) | instskip(SKIP_1) | instid1(VALU_DEP_2)
	v_cmp_ne_u32_e32 vcc_lo, 0, v9
	s_mov_b32 s11, -1
	v_dual_mov_b32 v69, v0 :: v_dual_mov_b32 v68, v66
	s_cbranch_vccnz .LBB6_601
; %bb.586:                              ;   in Loop: Header=BB6_507 Depth=3
	v_ashrrev_i32_e32 v8, 31, v66
	s_mov_b32 s11, exec_lo
	s_delay_alu instid0(VALU_DEP_1) | instskip(NEXT) | instid1(VALU_DEP_1)
	v_lshrrev_b32_e32 v8, 20, v8
	v_add_nc_u32_e32 v8, v66, v8
	s_delay_alu instid0(VALU_DEP_1) | instskip(NEXT) | instid1(VALU_DEP_1)
	v_ashrrev_i32_e32 v67, 12, v8
	v_sub_nc_u32_e32 v70, v67, v36
	s_delay_alu instid0(VALU_DEP_1)
	v_cmpx_lt_i32_e32 0, v70
	s_cbranch_execz .LBB6_591
; %bb.587:                              ;   in Loop: Header=BB6_507 Depth=3
	s_cbranch_execnz .LBB6_921
; %bb.588:                              ;   in Loop: Header=BB6_507 Depth=3
	ds_load_b64 v[8:9], v0
	s_mov_b32 s12, 0
	s_waitcnt lgkmcnt(0)
	v_dual_mov_b32 v53, v9 :: v_dual_mov_b32 v52, v8
.LBB6_589:                              ;   Parent Loop BB6_65 Depth=1
                                        ;     Parent Loop BB6_101 Depth=2
                                        ;       Parent Loop BB6_507 Depth=3
                                        ; =>      This Inner Loop Header: Depth=4
	s_delay_alu instid0(VALU_DEP_1) | instskip(NEXT) | instid1(VALU_DEP_2)
	v_add_co_u32 v68, vcc_lo, v101, v52
	v_add_co_ci_u32_e32 v69, vcc_lo, v103, v53, vcc_lo
	v_sub_nc_u32_e32 v70, v70, v100
	s_clause 0x7
	global_load_b128 v[80:83], v[68:69], off slc dlc
	global_load_b128 v[144:147], v[68:69], off offset:512 slc dlc
	global_load_b128 v[148:151], v[68:69], off offset:1024 slc dlc
	;; [unrolled: 1-line block ×7, first 2 shown]
	v_add_co_u32 v68, vcc_lo, v101, v8
	v_add_co_ci_u32_e32 v69, vcc_lo, v103, v9, vcc_lo
	v_add_co_u32 v52, vcc_lo, v52, v112
	v_add_co_ci_u32_e32 v53, vcc_lo, v53, v113, vcc_lo
	;; [unrolled: 2-line block ×3, first 2 shown]
	v_cmp_gt_i32_e32 vcc_lo, 1, v70
	s_waitcnt vmcnt(7)
	global_store_b128 v[68:69], v[80:83], off glc slc dlc
	s_waitcnt vmcnt(6)
	global_store_b128 v[68:69], v[144:147], off offset:512 glc slc dlc
	s_waitcnt vmcnt(5)
	global_store_b128 v[68:69], v[148:151], off offset:1024 glc slc dlc
	;; [unrolled: 2-line block ×7, first 2 shown]
	s_or_b32 s12, vcc_lo, s12
	s_delay_alu instid0(SALU_CYCLE_1)
	s_and_not1_b32 exec_lo, exec_lo, s12
	s_cbranch_execnz .LBB6_589
; %bb.590:                              ;   in Loop: Header=BB6_507 Depth=3
	s_or_b32 exec_lo, exec_lo, s12
.LBB6_591:                              ;   in Loop: Header=BB6_507 Depth=3
	s_delay_alu instid0(SALU_CYCLE_1) | instskip(SKIP_3) | instid1(VALU_DEP_1)
	s_or_b32 exec_lo, exec_lo, s11
	v_dual_mov_b32 v67, 0 :: v_dual_lshlrev_b32 v52, 12, v67
	s_mov_b32 s11, 0
	s_mov_b32 s30, exec_lo
                                        ; implicit-def: $vgpr68
                                        ; implicit-def: $vgpr69
                                        ; implicit-def: $vgpr80
	v_cmpx_ne_u32_e64 v66, v52
	s_cbranch_execz .LBB6_600
; %bb.592:                              ;   in Loop: Header=BB6_507 Depth=3
	v_lshlrev_b32_e32 v8, 5, v70
	v_sub_nc_u32_e32 v67, v66, v52
	s_mov_b32 s31, exec_lo
	s_delay_alu instid0(VALU_DEP_2) | instskip(NEXT) | instid1(VALU_DEP_2)
	v_sub_nc_u32_e32 v8, v99, v8
	v_ashrrev_i32_e32 v53, 31, v67
	s_delay_alu instid0(VALU_DEP_2) | instskip(NEXT) | instid1(VALU_DEP_2)
	v_ashrrev_i32_e32 v9, 31, v8
	v_lshrrev_b32_e32 v53, 23, v53
	s_delay_alu instid0(VALU_DEP_2) | instskip(NEXT) | instid1(VALU_DEP_2)
	v_lshrrev_b32_e32 v9, 27, v9
	v_add_nc_u32_e32 v69, v67, v53
	s_delay_alu instid0(VALU_DEP_2) | instskip(NEXT) | instid1(VALU_DEP_2)
	v_add_nc_u32_e32 v9, v8, v9
	v_and_b32_e32 v53, 0xfffffe00, v69
	v_ashrrev_i32_e32 v69, 9, v69
	s_delay_alu instid0(VALU_DEP_3) | instskip(NEXT) | instid1(VALU_DEP_3)
	v_and_b32_e32 v68, 0xffffffe0, v9
	v_sub_nc_u32_e32 v71, v67, v53
	s_delay_alu instid0(VALU_DEP_2) | instskip(SKIP_1) | instid1(VALU_DEP_3)
	v_sub_nc_u32_e32 v70, v8, v68
	v_ashrrev_i32_e32 v8, 5, v9
	v_cmp_lt_i32_e32 vcc_lo, 15, v71
	s_delay_alu instid0(VALU_DEP_3) | instskip(NEXT) | instid1(VALU_DEP_1)
	v_lshlrev_b32_e32 v9, 4, v70
	v_lshl_add_u32 v68, v8, 9, v9
	v_add_co_ci_u32_e64 v9, s11, 0, v69, vcc_lo
	s_delay_alu instid0(VALU_DEP_2) | instskip(NEXT) | instid1(VALU_DEP_2)
	v_sub_nc_u32_e32 v67, v67, v68
	v_sub_nc_u32_e32 v81, v9, v8
	s_delay_alu instid0(VALU_DEP_2)
	v_cmpx_lt_i32_e32 15, v67
	s_cbranch_execz .LBB6_597
; %bb.593:                              ;   in Loop: Header=BB6_507 Depth=3
	s_cbranch_execnz .LBB6_949
; %bb.594:                              ;   in Loop: Header=BB6_507 Depth=3
	ds_load_b64 v[8:9], v0
	v_add_nc_u32_e32 v68, v68, v52
	s_mov_b32 s34, 0
	s_delay_alu instid0(VALU_DEP_1)
	v_ashrrev_i32_e32 v69, 31, v68
.LBB6_595:                              ;   Parent Loop BB6_65 Depth=1
                                        ;     Parent Loop BB6_101 Depth=2
                                        ;       Parent Loop BB6_507 Depth=3
                                        ; =>      This Inner Loop Header: Depth=4
	s_waitcnt lgkmcnt(0)
	v_add_co_u32 v144, s11, v8, v68
	s_delay_alu instid0(VALU_DEP_1)
	v_add_co_ci_u32_e64 v145, s11, v9, v69, s11
	v_sub_nc_u32_e32 v67, v67, v102
	v_add_co_u32 v68, s12, v68, v114
	global_load_b128 v[82:85], v[144:145], off slc dlc
	v_sub_nc_u32_e32 v81, v81, v100
	v_cmp_gt_i32_e64 s11, 16, v67
	v_add_co_ci_u32_e64 v69, s12, v69, v115, s12
	s_delay_alu instid0(VALU_DEP_2)
	s_or_b32 s34, s11, s34
	s_waitcnt vmcnt(0)
	global_store_b128 v[144:145], v[82:85], off glc slc dlc
	s_and_not1_b32 exec_lo, exec_lo, s34
	s_cbranch_execnz .LBB6_595
; %bb.596:                              ;   in Loop: Header=BB6_507 Depth=3
	s_or_b32 exec_lo, exec_lo, s34
.LBB6_597:                              ;   in Loop: Header=BB6_507 Depth=3
	s_delay_alu instid0(SALU_CYCLE_1) | instskip(SKIP_3) | instid1(VALU_DEP_1)
	s_or_b32 exec_lo, exec_lo, s31
	v_dual_mov_b32 v67, 0 :: v_dual_and_b32 v8, 15, v66
	s_mov_b32 s12, 0
	s_mov_b32 s31, exec_lo
                                        ; implicit-def: $vgpr69
                                        ; implicit-def: $vgpr80
	v_cndmask_b32_e32 v68, v71, v8, vcc_lo
	s_delay_alu instid0(VALU_DEP_1)
	v_cmpx_ne_u32_e32 0, v68
; %bb.598:                              ;   in Loop: Header=BB6_507 Depth=3
	v_cmp_lt_i32_e64 s11, 0, v81
	v_sub_nc_u32_e32 v8, v71, v8
	s_mov_b32 s12, exec_lo
	s_delay_alu instid0(VALU_DEP_2) | instskip(NEXT) | instid1(VALU_DEP_1)
	v_cndmask_b32_e64 v9, 0, v100, s11
	v_sub_nc_u32_e32 v9, v9, v81
	s_delay_alu instid0(VALU_DEP_1) | instskip(NEXT) | instid1(VALU_DEP_1)
	v_lshl_add_u32 v69, v9, 5, v70
	v_ashrrev_i32_e32 v9, 31, v69
	s_delay_alu instid0(VALU_DEP_1) | instskip(NEXT) | instid1(VALU_DEP_1)
	v_lshrrev_b32_e32 v9, 27, v9
	v_dual_cndmask_b32 v8, 0, v8 :: v_dual_add_nc_u32 v9, v69, v9
	s_delay_alu instid0(VALU_DEP_1) | instskip(NEXT) | instid1(VALU_DEP_2)
	v_add3_u32 v67, v53, v52, v8
	v_ashrrev_i32_e32 v80, 5, v9
; %bb.599:                              ;   in Loop: Header=BB6_507 Depth=3
	s_or_b32 exec_lo, exec_lo, s31
	s_delay_alu instid0(SALU_CYCLE_1)
	s_and_b32 s11, s12, exec_lo
.LBB6_600:                              ;   in Loop: Header=BB6_507 Depth=3
	s_or_b32 exec_lo, exec_lo, s30
.LBB6_601:                              ;   in Loop: Header=BB6_507 Depth=3
	s_and_saveexec_b32 s12, s11
	s_cbranch_execz .LBB6_613
; %bb.602:                              ;   in Loop: Header=BB6_507 Depth=3
	s_delay_alu instid0(VALU_DEP_1) | instskip(SKIP_1) | instid1(VALU_DEP_1)
	v_ashrrev_i32_e32 v8, 31, v68
	s_mov_b32 s11, exec_lo
	v_lshrrev_b32_e32 v8, 22, v8
	s_delay_alu instid0(VALU_DEP_1) | instskip(NEXT) | instid1(VALU_DEP_1)
	v_add_nc_u32_e32 v8, v68, v8
	v_ashrrev_i32_e32 v71, 10, v8
	s_delay_alu instid0(VALU_DEP_1) | instskip(NEXT) | instid1(VALU_DEP_1)
	v_sub_nc_u32_e32 v70, v71, v80
	v_cmpx_lt_i32_e32 0, v70
	s_cbranch_execz .LBB6_607
; %bb.603:                              ;   in Loop: Header=BB6_507 Depth=3
	s_cbranch_execnz .LBB6_911
; %bb.604:                              ;   in Loop: Header=BB6_507 Depth=3
	v_ashrrev_i32_e32 v8, 31, v69
	s_mov_b32 s30, 0
	s_delay_alu instid0(VALU_DEP_1) | instskip(NEXT) | instid1(VALU_DEP_1)
	v_lshrrev_b32_e32 v8, 27, v8
	v_add_nc_u32_e32 v52, v69, v8
	ds_load_b64 v[8:9], v0
	v_lshlrev_b32_e32 v53, 10, v80
	v_and_b32_e32 v52, 0xffffffe0, v52
	s_delay_alu instid0(VALU_DEP_1) | instskip(NEXT) | instid1(VALU_DEP_1)
	v_sub_nc_u32_e32 v52, v69, v52
	v_add3_u32 v80, v67, v52, v53
	s_delay_alu instid0(VALU_DEP_1)
	v_ashrrev_i32_e32 v81, 31, v80
	s_waitcnt lgkmcnt(0)
	v_dual_mov_b32 v53, v9 :: v_dual_mov_b32 v52, v8
.LBB6_605:                              ;   Parent Loop BB6_65 Depth=1
                                        ;     Parent Loop BB6_101 Depth=2
                                        ;       Parent Loop BB6_507 Depth=3
                                        ; =>      This Inner Loop Header: Depth=4
	s_delay_alu instid0(VALU_DEP_1) | instskip(NEXT) | instid1(VALU_DEP_2)
	v_add_co_u32 v82, vcc_lo, v80, v52
	v_add_co_ci_u32_e32 v83, vcc_lo, v81, v53, vcc_lo
	v_sub_nc_u32_e32 v70, v70, v100
	s_clause 0x1f
	flat_load_u8 v84, v[82:83] slc dlc
	flat_load_u8 v85, v[82:83] offset:32 slc dlc
	flat_load_u8 v86, v[82:83] offset:64 slc dlc
	;; [unrolled: 1-line block ×31, first 2 shown]
	v_add_co_u32 v82, vcc_lo, v80, v8
	v_add_co_ci_u32_e32 v83, vcc_lo, v81, v9, vcc_lo
	v_add_co_u32 v52, vcc_lo, v52, v116
	v_add_co_ci_u32_e32 v53, vcc_lo, v53, v117, vcc_lo
	;; [unrolled: 2-line block ×3, first 2 shown]
	v_cmp_gt_i32_e32 vcc_lo, 1, v70
	s_waitcnt vmcnt(31) lgkmcnt(31)
	flat_store_b8 v[82:83], v84 glc slc dlc
	s_waitcnt vmcnt(30) lgkmcnt(31)
	flat_store_b8 v[82:83], v85 offset:32 glc slc dlc
	s_waitcnt vmcnt(29) lgkmcnt(31)
	flat_store_b8 v[82:83], v86 offset:64 glc slc dlc
	;; [unrolled: 2-line block ×31, first 2 shown]
	s_or_b32 s30, vcc_lo, s30
	s_delay_alu instid0(SALU_CYCLE_1)
	s_and_not1_b32 exec_lo, exec_lo, s30
	s_cbranch_execnz .LBB6_605
; %bb.606:                              ;   in Loop: Header=BB6_507 Depth=3
	s_or_b32 exec_lo, exec_lo, s30
.LBB6_607:                              ;   in Loop: Header=BB6_507 Depth=3
	s_delay_alu instid0(SALU_CYCLE_1) | instskip(SKIP_2) | instid1(VALU_DEP_1)
	s_or_b32 exec_lo, exec_lo, s11
	v_lshlrev_b32_e32 v8, 10, v71
	s_mov_b32 s30, exec_lo
	v_cmpx_ne_u32_e64 v68, v8
	s_cbranch_execz .LBB6_612
; %bb.608:                              ;   in Loop: Header=BB6_507 Depth=3
	v_ashrrev_i32_e32 v9, 31, v69
	v_lshlrev_b32_e32 v52, 5, v70
	s_delay_alu instid0(VALU_DEP_2) | instskip(NEXT) | instid1(VALU_DEP_1)
	v_lshrrev_b32_e32 v9, 27, v9
	v_add_nc_u32_e32 v9, v69, v9
	s_delay_alu instid0(VALU_DEP_1) | instskip(NEXT) | instid1(VALU_DEP_1)
	v_and_b32_e32 v9, 0xffffffe0, v9
	v_sub_nc_u32_e32 v9, v69, v9
	s_delay_alu instid0(VALU_DEP_1) | instskip(NEXT) | instid1(VALU_DEP_1)
	v_sub_nc_u32_e32 v9, v9, v52
	v_add_nc_u32_e32 v53, v8, v9
	s_delay_alu instid0(VALU_DEP_1) | instskip(NEXT) | instid1(VALU_DEP_1)
	v_sub_nc_u32_e32 v52, v68, v53
	v_cmp_lt_i32_e32 vcc_lo, 0, v52
	s_and_b32 exec_lo, exec_lo, vcc_lo
	s_cbranch_execz .LBB6_612
; %bb.609:                              ;   in Loop: Header=BB6_507 Depth=3
	s_cbranch_execnz .LBB6_945
; %bb.610:                              ;   in Loop: Header=BB6_507 Depth=3
	ds_load_b64 v[8:9], v0
	v_add_nc_u32_e32 v53, v53, v67
	s_mov_b32 s31, 0
	s_delay_alu instid0(VALU_DEP_1)
	v_ashrrev_i32_e32 v67, 31, v53
.LBB6_611:                              ;   Parent Loop BB6_65 Depth=1
                                        ;     Parent Loop BB6_101 Depth=2
                                        ;       Parent Loop BB6_507 Depth=3
                                        ; =>      This Inner Loop Header: Depth=4
	s_waitcnt lgkmcnt(0)
	v_add_co_u32 v68, vcc_lo, v8, v53
	s_delay_alu instid0(VALU_DEP_2)
	v_add_co_ci_u32_e32 v69, vcc_lo, v9, v67, vcc_lo
	v_sub_nc_u32_e32 v52, v52, v118
	v_add_co_u32 v53, s11, v53, v118
	flat_load_u8 v70, v[68:69] slc dlc
	v_add_co_ci_u32_e64 v67, s11, v67, v119, s11
	v_cmp_gt_i32_e32 vcc_lo, 1, v52
	s_or_b32 s31, vcc_lo, s31
	s_waitcnt vmcnt(0) lgkmcnt(0)
	flat_store_b8 v[68:69], v70 glc slc dlc
	s_and_not1_b32 exec_lo, exec_lo, s31
	s_cbranch_execnz .LBB6_611
.LBB6_612:                              ;   in Loop: Header=BB6_507 Depth=3
	s_or_b32 exec_lo, exec_lo, s30
.LBB6_613:                              ;   in Loop: Header=BB6_507 Depth=3
	s_delay_alu instid0(SALU_CYCLE_1)
	s_or_b32 exec_lo, exec_lo, s12
.LBB6_614:                              ;   in Loop: Header=BB6_507 Depth=3
	s_and_saveexec_b32 s11, s4
	s_cbranch_execz .LBB6_636
; %bb.615:                              ;   in Loop: Header=BB6_507 Depth=3
	s_and_saveexec_b32 s12, s5
	s_delay_alu instid0(SALU_CYCLE_1)
	s_xor_b32 s12, exec_lo, s12
	s_cbranch_execz .LBB6_633
; %bb.616:                              ;   in Loop: Header=BB6_507 Depth=3
	s_and_saveexec_b32 s30, s2
	s_cbranch_execz .LBB6_632
; %bb.617:                              ;   in Loop: Header=BB6_507 Depth=3
	s_mov_b32 s34, exec_lo
	s_mov_b32 s31, exec_lo
	v_mbcnt_lo_u32_b32 v8, s34, 0
	s_waitcnt lgkmcnt(0)
	s_waitcnt_vscnt null, 0x0
	buffer_gl1_inv
	buffer_gl0_inv
	v_cmpx_eq_u32_e32 0, v8
	s_cbranch_execz .LBB6_619
; %bb.618:                              ;   in Loop: Header=BB6_507 Depth=3
	s_bcnt1_i32_b32 vcc_lo, s34
	s_delay_alu instid0(SALU_CYCLE_1)
	v_dual_mov_b32 v9, v26 :: v_dual_mov_b32 v8, vcc_lo
	ds_add_u64 v0, v[8:9]
	s_cbranch_execnz .LBB6_935
.LBB6_619:                              ;   in Loop: Header=BB6_507 Depth=3
	s_or_b32 exec_lo, exec_lo, s31
	s_cbranch_execnz .LBB6_927
; %bb.620:                              ;   in Loop: Header=BB6_507 Depth=3
	ds_load_b64 v[8:9], v0
	v_add_co_u32 v10, vcc_lo, v10, v100
	v_add_co_ci_u32_e32 v11, vcc_lo, 0, v11, vcc_lo
	s_mov_b32 s31, exec_lo
	s_waitcnt lgkmcnt(0)
	s_delay_alu instid0(VALU_DEP_1)
	v_cmpx_lt_u64_e64 v[8:9], v[10:11]
	s_cbranch_execz .LBB6_631
; %bb.621:                              ;   in Loop: Header=BB6_507 Depth=3
	s_mov_b32 s34, 0
	s_mov_b32 s37, 0
                                        ; implicit-def: $sgpr35
                                        ; implicit-def: $sgpr36
	s_branch .LBB6_623
.LBB6_622:                              ;   in Loop: Header=BB6_623 Depth=4
	s_or_b32 exec_lo, exec_lo, s39
	s_delay_alu instid0(SALU_CYCLE_1) | instskip(NEXT) | instid1(SALU_CYCLE_1)
	s_and_b32 vcc_lo, exec_lo, vcc_lo
	s_or_b32 s34, vcc_lo, s34
	s_and_not1_b32 vcc_lo, s35, exec_lo
	s_and_b32 s35, s36, exec_lo
	s_delay_alu instid0(SALU_CYCLE_1)
	s_or_b32 s35, vcc_lo, s35
	s_and_not1_b32 exec_lo, exec_lo, s34
	s_cbranch_execz .LBB6_629
.LBB6_623:                              ;   Parent Loop BB6_65 Depth=1
                                        ;     Parent Loop BB6_101 Depth=2
                                        ;       Parent Loop BB6_507 Depth=3
                                        ; =>      This Inner Loop Header: Depth=4
	s_add_i32 s37, s37, 1
                                        ; implicit-def: $sgpr39
	s_delay_alu instid0(SALU_CYCLE_1) | instskip(SKIP_1) | instid1(SALU_CYCLE_1)
	s_cmpk_lg_i32 s37, 0x2710
	s_cselect_b32 s38, -1, 0
	s_and_b32 vcc_lo, exec_lo, s38
	s_cbranch_vccnz .LBB6_626
; %bb.624:                              ;   in Loop: Header=BB6_623 Depth=4
	s_cbranch_execnz .LBB6_961
; %bb.625:                              ;   in Loop: Header=BB6_623 Depth=4
	ds_load_b64 v[8:9], v0
	s_and_not1_b32 s38, s38, exec_lo
	s_mov_b32 s37, 0
	s_mov_b32 s39, -1
	s_waitcnt lgkmcnt(0)
	flat_load_b32 v8, v[8:9] glc
	s_waitcnt vmcnt(0) lgkmcnt(0)
	buffer_gl1_inv
	buffer_gl0_inv
	v_cmp_eq_u32_e32 vcc_lo, 0, v8
	s_and_b32 vcc_lo, vcc_lo, exec_lo
	s_delay_alu instid0(SALU_CYCLE_1)
	s_or_b32 s38, s38, vcc_lo
.LBB6_626:                              ;   in Loop: Header=BB6_623 Depth=4
	s_and_not1_b32 s36, s36, exec_lo
	s_and_b32 s39, s39, exec_lo
	s_mov_b32 vcc_lo, -1
	s_or_b32 s36, s36, s39
	s_and_saveexec_b32 s39, s38
	s_cbranch_execz .LBB6_622
; %bb.627:                              ;   in Loop: Header=BB6_623 Depth=4
	s_sleep 1
	s_cbranch_execnz .LBB6_955
; %bb.628:                              ;   in Loop: Header=BB6_623 Depth=4
	ds_load_b64 v[8:9], v0
	s_and_not1_b32 s36, s36, exec_lo
	s_waitcnt lgkmcnt(0)
	v_cmp_ge_u64_e32 vcc_lo, v[8:9], v[10:11]
	s_or_not1_b32 vcc_lo, vcc_lo, exec_lo
	s_branch .LBB6_622
.LBB6_629:                              ;   in Loop: Header=BB6_507 Depth=3
	s_or_b32 exec_lo, exec_lo, s34
	s_and_saveexec_b32 vcc_lo, s35
	s_delay_alu instid0(SALU_CYCLE_1)
	s_xor_b32 vcc_lo, exec_lo, vcc_lo
	s_cbranch_execz .LBB6_631
; %bb.630:                              ;   in Loop: Header=BB6_507 Depth=3
	ds_store_b32 v0, v131
	s_cbranch_execnz .LBB6_981
.LBB6_631:                              ;   in Loop: Header=BB6_507 Depth=3
	s_or_b32 exec_lo, exec_lo, s31
	;;#ASMSTART
	s_wakeup
	;;#ASMEND
.LBB6_632:                              ;   in Loop: Header=BB6_507 Depth=3
	s_or_b32 exec_lo, exec_lo, s30
.LBB6_633:                              ;   in Loop: Header=BB6_507 Depth=3
	s_and_not1_saveexec_b32 s12, s12
	s_cbranch_execz .LBB6_635
; %bb.634:                              ;   in Loop: Header=BB6_507 Depth=3
	s_waitcnt lgkmcnt(0)
	s_waitcnt_vscnt null, 0x0
	buffer_gl1_inv
	buffer_gl0_inv
	s_barrier
.LBB6_635:                              ;   in Loop: Header=BB6_507 Depth=3
	s_or_b32 exec_lo, exec_lo, s12
.LBB6_636:                              ;   in Loop: Header=BB6_507 Depth=3
	s_delay_alu instid0(SALU_CYCLE_1) | instskip(SKIP_2) | instid1(VALU_DEP_2)
	s_or_b32 exec_lo, exec_lo, s11
	v_and_b32_e32 v8, 16, v97
	v_cmp_lt_i32_e32 vcc_lo, 0, v66
	v_cmp_ne_u32_e64 s11, 0, v8
	s_delay_alu instid0(VALU_DEP_1) | instskip(NEXT) | instid1(SALU_CYCLE_1)
	s_and_b32 s12, s11, vcc_lo
	s_and_saveexec_b32 s11, s12
	s_cbranch_execz .LBB6_638
; %bb.637:                              ;   in Loop: Header=BB6_507 Depth=3
	s_waitcnt lgkmcnt(0)
	s_waitcnt_vscnt null, 0x0
	buffer_gl1_inv
	buffer_gl0_inv
.LBB6_638:                              ;   in Loop: Header=BB6_507 Depth=3
	s_or_b32 exec_lo, exec_lo, s11
	v_and_b32_e32 v8, 32, v97
	s_mov_b32 s11, exec_lo
	s_delay_alu instid0(VALU_DEP_1)
	v_cmpx_ne_u32_e32 0, v8
	s_cbranch_execz .LBB6_640
; %bb.639:                              ;   in Loop: Header=BB6_507 Depth=3
	v_add_co_u32 v18, vcc_lo, v18, 2
	v_add_co_ci_u32_e32 v19, vcc_lo, 0, v19, vcc_lo
	s_waitcnt lgkmcnt(0)
	s_waitcnt_vscnt null, 0x0
	flat_store_b64 v[16:17], v[18:19]
.LBB6_640:                              ;   in Loop: Header=BB6_507 Depth=3
	s_or_b32 exec_lo, exec_lo, s11
	v_add_nc_u32_e32 v55, v54, v55
	s_xor_b32 s11, s29, -1
	s_mov_b32 s29, 0
	s_delay_alu instid0(VALU_DEP_1) | instskip(SKIP_4) | instid1(SALU_CYCLE_1)
	v_cmp_ge_i32_e32 vcc_lo, v55, v27
	v_mov_b32_e32 v8, vcc_hi
	s_or_b32 s11, s11, vcc_lo
	s_mov_b32 vcc_hi, 2
	s_and_b32 s11, exec_lo, s11
	s_or_b32 s28, s11, s28
	s_delay_alu instid0(SALU_CYCLE_1)
	s_and_not1_b32 exec_lo, exec_lo, s28
	s_cbranch_execnz .LBB6_507
; %bb.641:                              ;   in Loop: Header=BB6_101 Depth=2
	s_or_b32 exec_lo, exec_lo, s28
.LBB6_642:                              ;   in Loop: Header=BB6_101 Depth=2
	s_delay_alu instid0(SALU_CYCLE_1) | instskip(NEXT) | instid1(SALU_CYCLE_1)
	s_or_b32 exec_lo, exec_lo, s27
	s_mov_b32 s12, exec_lo
	v_cmpx_gt_i32_e32 2, v8
	s_cbranch_execz .LBB6_697
; %bb.643:                              ;   in Loop: Header=BB6_101 Depth=2
	v_cmp_eq_u32_e64 s11, 0, v8
	s_mov_b32 s27, 0
.LBB6_644:                              ;   Parent Loop BB6_65 Depth=1
                                        ;     Parent Loop BB6_101 Depth=2
                                        ; =>    This Loop Header: Depth=3
                                        ;         Child Loop BB6_650 Depth 4
                                        ;         Child Loop BB6_677 Depth 4
	v_and_b32_e32 v8, 4, v97
	s_mov_b32 s29, -1
	s_mov_b32 s28, exec_lo
	s_delay_alu instid0(VALU_DEP_1)
	v_cmpx_ne_u32_e32 0, v8
	s_cbranch_execz .LBB6_658
; %bb.645:                              ;   in Loop: Header=BB6_644 Depth=3
	v_add_co_u32 v8, vcc_lo, v18, 2
	v_add_co_ci_u32_e32 v9, vcc_lo, 0, v19, vcc_lo
	v_mov_b32_e32 v52, 1
	s_mov_b32 s29, exec_lo
	s_delay_alu instid0(VALU_DEP_2)
	v_cmpx_lt_u64_e64 v[22:23], v[8:9]
	s_cbranch_execz .LBB6_657
; %bb.646:                              ;   in Loop: Header=BB6_644 Depth=3
	v_mov_b32_e32 v52, 0
	s_mov_b32 vcc_hi, 0
                                        ; implicit-def: $sgpr30
	s_branch .LBB6_650
.LBB6_647:                              ;   in Loop: Header=BB6_650 Depth=4
	s_or_b32 exec_lo, exec_lo, s36
	v_mov_b32_e32 v53, 0
	s_or_not1_b32 s35, s35, exec_lo
.LBB6_648:                              ;   in Loop: Header=BB6_650 Depth=4
	s_or_b32 exec_lo, exec_lo, s34
	s_delay_alu instid0(VALU_DEP_1) | instskip(SKIP_2) | instid1(SALU_CYCLE_1)
	v_mov_b32_e32 v52, v53
	s_and_not1_b32 vcc_lo, s30, exec_lo
	s_and_b32 s30, s35, exec_lo
	s_or_b32 s30, vcc_lo, s30
.LBB6_649:                              ;   in Loop: Header=BB6_650 Depth=4
	s_or_b32 exec_lo, exec_lo, s31
	s_waitcnt vmcnt(0) lgkmcnt(0)
	v_cmp_ge_u64_e32 vcc_lo, v[22:23], v[8:9]
	s_xor_b32 s31, s30, -1
	s_delay_alu instid0(SALU_CYCLE_1) | instskip(NEXT) | instid1(SALU_CYCLE_1)
	s_or_b32 vcc_lo, s31, vcc_lo
	s_and_b32 vcc_lo, exec_lo, vcc_lo
	s_delay_alu instid0(SALU_CYCLE_1) | instskip(NEXT) | instid1(SALU_CYCLE_1)
	s_or_b32 vcc_hi, vcc_lo, vcc_hi
	s_and_not1_b32 exec_lo, exec_lo, vcc_hi
	s_cbranch_execz .LBB6_656
.LBB6_650:                              ;   Parent Loop BB6_65 Depth=1
                                        ;     Parent Loop BB6_101 Depth=2
                                        ;       Parent Loop BB6_644 Depth=3
                                        ; =>      This Inner Loop Header: Depth=4
	s_sleep 1
	flat_load_b64 v[22:23], v[16:17] glc
	v_and_b32_e32 v53, 64, v97
	s_and_not1_b32 s30, s30, exec_lo
	s_mov_b32 s31, exec_lo
	s_delay_alu instid0(VALU_DEP_1)
	v_cmpx_eq_u32_e32 0, v53
	s_cbranch_execz .LBB6_649
; %bb.651:                              ;   in Loop: Header=BB6_650 Depth=4
	v_add_nc_u32_e32 v53, 1, v52
	s_mov_b32 s35, -1
	s_mov_b32 s34, exec_lo
	v_cmpx_lt_i32_e32 0x270e, v52
	s_cbranch_execz .LBB6_648
; %bb.652:                              ;   in Loop: Header=BB6_650 Depth=4
	s_cbranch_execnz .LBB6_825
; %bb.653:                              ;   in Loop: Header=BB6_650 Depth=4
	ds_load_b64 v[52:53], v0
	s_mov_b32 s36, exec_lo
	s_waitcnt vmcnt(0) lgkmcnt(0)
	s_waitcnt_vscnt null, 0x0
	flat_load_b32 v52, v[52:53] glc
	s_waitcnt vmcnt(0) lgkmcnt(0)
	buffer_gl1_inv
	buffer_gl0_inv
	v_cmpx_ne_u32_e32 0, v52
	s_cbranch_execz .LBB6_647
; %bb.654:                              ;   in Loop: Header=BB6_650 Depth=4
	ds_store_b32 v0, v52
	s_cbranch_execnz .LBB6_863
; %bb.655:                              ;   in Loop: Header=BB6_650 Depth=4
	v_or_b32_e32 v97, 64, v97
	s_xor_b32 s35, exec_lo, -1
	s_branch .LBB6_647
.LBB6_656:                              ;   in Loop: Header=BB6_644 Depth=3
	s_or_b32 exec_lo, exec_lo, vcc_hi
	v_and_b32_e32 v52, 4, v97
.LBB6_657:                              ;   in Loop: Header=BB6_644 Depth=3
	s_or_b32 exec_lo, exec_lo, s29
	s_delay_alu instid0(VALU_DEP_1)
	v_cmp_eq_u32_e32 vcc_lo, 0, v52
	;;#ASMSTART
	s_wakeup
	;;#ASMEND
	s_or_not1_b32 s29, vcc_lo, exec_lo
.LBB6_658:                              ;   in Loop: Header=BB6_644 Depth=3
	s_or_b32 exec_lo, exec_lo, s28
	s_xor_b32 s11, s11, -1
	s_delay_alu instid0(SALU_CYCLE_1) | instskip(NEXT) | instid1(SALU_CYCLE_1)
	s_and_b32 s11, exec_lo, s11
	s_or_b32 s27, s11, s27
	s_xor_b32 s11, s29, -1
	s_delay_alu instid0(SALU_CYCLE_1)
	s_and_saveexec_b32 s28, s11
	s_cbranch_execz .LBB6_668
; %bb.659:                              ;   in Loop: Header=BB6_644 Depth=3
	v_and_b32_e32 v8, 0x100, v97
	v_and_b32_e32 v64, 7, v18
	s_mov_b32 s11, -1
	s_delay_alu instid0(VALU_DEP_2)
	v_cmp_ne_u32_e32 vcc_lo, 0, v8
                                        ; implicit-def: $vgpr8_vgpr9
	s_and_saveexec_b32 s29, vcc_lo
	s_cbranch_execz .LBB6_663
; %bb.660:                              ;   in Loop: Header=BB6_644 Depth=3
	v_mad_u64_u32 v[52:53], null, v64, 24, v[4:5]
	flat_load_b32 v8, v[52:53]
	s_waitcnt vmcnt(0) lgkmcnt(0)
	v_cmp_ne_u32_e32 vcc_lo, 1, v8
	v_cmp_eq_u32_e64 s11, 1, v8
                                        ; implicit-def: $vgpr8_vgpr9
	s_delay_alu instid0(VALU_DEP_1)
	s_and_saveexec_b32 vcc_hi, s11
	s_cbranch_execz .LBB6_662
; %bb.661:                              ;   in Loop: Header=BB6_644 Depth=3
	flat_load_b32 v8, v[52:53] offset:4 glc
	s_waitcnt vmcnt(0) lgkmcnt(0)
	v_ashrrev_i32_e32 v9, 31, v8
.LBB6_662:                              ;   in Loop: Header=BB6_644 Depth=3
	s_or_b32 exec_lo, exec_lo, vcc_hi
	s_delay_alu instid0(SALU_CYCLE_1)
	s_or_not1_b32 s11, vcc_lo, exec_lo
.LBB6_663:                              ;   in Loop: Header=BB6_644 Depth=3
	s_or_b32 exec_lo, exec_lo, s29
	s_and_saveexec_b32 s29, s11
; %bb.664:                              ;   in Loop: Header=BB6_644 Depth=3
	v_mad_i64_i32 v[8:9], null, v64, v98, 0
; %bb.665:                              ;   in Loop: Header=BB6_644 Depth=3
	s_or_b32 exec_lo, exec_lo, s29
	s_delay_alu instid0(VALU_DEP_1) | instskip(SKIP_1) | instid1(VALU_DEP_3)
	v_add_co_u32 v8, vcc_lo, v20, v8
	v_and_b32_e32 v52, 0x2000, v97
	v_add_co_ci_u32_e32 v9, vcc_lo, v21, v9, vcc_lo
	s_mov_b32 s11, exec_lo
	ds_store_b64 v0, v[8:9] offset:720
	v_cmpx_ne_u32_e32 0, v52
	s_cbranch_execz .LBB6_667
; %bb.666:                              ;   in Loop: Header=BB6_644 Depth=3
	ds_load_b64 v[8:9], v0 offset:584
	s_waitcnt lgkmcnt(0)
	v_add_co_u32 v8, vcc_lo, v8, 1
	v_add_co_ci_u32_e32 v9, vcc_lo, 0, v9, vcc_lo
	ds_store_b64 v0, v[8:9] offset:584
.LBB6_667:                              ;   in Loop: Header=BB6_644 Depth=3
	s_or_b32 exec_lo, exec_lo, s11
	v_add_co_u32 v18, vcc_lo, v18, 2
	v_add_co_ci_u32_e32 v19, vcc_lo, 0, v19, vcc_lo
.LBB6_668:                              ;   in Loop: Header=BB6_644 Depth=3
	s_or_b32 exec_lo, exec_lo, s28
	s_and_saveexec_b32 s11, s4
	s_cbranch_execz .LBB6_690
; %bb.669:                              ;   in Loop: Header=BB6_644 Depth=3
	s_and_saveexec_b32 s28, s5
	s_delay_alu instid0(SALU_CYCLE_1)
	s_xor_b32 s28, exec_lo, s28
	s_cbranch_execz .LBB6_687
; %bb.670:                              ;   in Loop: Header=BB6_644 Depth=3
	s_and_saveexec_b32 s29, s2
	s_cbranch_execz .LBB6_686
; %bb.671:                              ;   in Loop: Header=BB6_644 Depth=3
	s_mov_b32 s30, exec_lo
	s_mov_b32 vcc_hi, exec_lo
	v_mbcnt_lo_u32_b32 v8, s30, 0
	s_waitcnt lgkmcnt(0)
	s_waitcnt_vscnt null, 0x0
	buffer_gl1_inv
	buffer_gl0_inv
	v_cmpx_eq_u32_e32 0, v8
	s_cbranch_execz .LBB6_673
; %bb.672:                              ;   in Loop: Header=BB6_644 Depth=3
	s_bcnt1_i32_b32 vcc_lo, s30
	s_delay_alu instid0(SALU_CYCLE_1)
	v_dual_mov_b32 v9, v26 :: v_dual_mov_b32 v8, vcc_lo
	ds_add_u64 v0, v[8:9]
	s_cbranch_execnz .LBB6_885
.LBB6_673:                              ;   in Loop: Header=BB6_644 Depth=3
	s_or_b32 exec_lo, exec_lo, vcc_hi
	s_cbranch_execnz .LBB6_869
; %bb.674:                              ;   in Loop: Header=BB6_644 Depth=3
	ds_load_b64 v[8:9], v0
	v_add_co_u32 v10, vcc_lo, v10, v100
	v_add_co_ci_u32_e32 v11, vcc_lo, 0, v11, vcc_lo
	s_mov_b32 vcc_hi, exec_lo
	s_waitcnt lgkmcnt(0)
	s_delay_alu instid0(VALU_DEP_1)
	v_cmpx_lt_u64_e64 v[8:9], v[10:11]
	s_cbranch_execz .LBB6_685
; %bb.675:                              ;   in Loop: Header=BB6_644 Depth=3
	s_mov_b32 s30, 0
	s_mov_b32 s35, 0
                                        ; implicit-def: $sgpr31
                                        ; implicit-def: $sgpr34
	s_branch .LBB6_677
.LBB6_676:                              ;   in Loop: Header=BB6_677 Depth=4
	s_or_b32 exec_lo, exec_lo, s37
	s_delay_alu instid0(SALU_CYCLE_1) | instskip(NEXT) | instid1(SALU_CYCLE_1)
	s_and_b32 vcc_lo, exec_lo, vcc_lo
	s_or_b32 s30, vcc_lo, s30
	s_and_not1_b32 vcc_lo, s31, exec_lo
	s_and_b32 s31, s34, exec_lo
	s_delay_alu instid0(SALU_CYCLE_1)
	s_or_b32 s31, vcc_lo, s31
	s_and_not1_b32 exec_lo, exec_lo, s30
	s_cbranch_execz .LBB6_683
.LBB6_677:                              ;   Parent Loop BB6_65 Depth=1
                                        ;     Parent Loop BB6_101 Depth=2
                                        ;       Parent Loop BB6_644 Depth=3
                                        ; =>      This Inner Loop Header: Depth=4
	s_add_i32 s35, s35, 1
                                        ; implicit-def: $sgpr37
	s_delay_alu instid0(SALU_CYCLE_1) | instskip(SKIP_1) | instid1(SALU_CYCLE_1)
	s_cmpk_lg_i32 s35, 0x2710
	s_cselect_b32 s36, -1, 0
	s_and_b32 vcc_lo, exec_lo, s36
	s_cbranch_vccz .LBB6_681
.LBB6_678:                              ;   in Loop: Header=BB6_677 Depth=4
	s_and_not1_b32 s34, s34, exec_lo
	s_and_b32 s37, s37, exec_lo
	s_mov_b32 vcc_lo, -1
	s_or_b32 s34, s34, s37
	s_and_saveexec_b32 s37, s36
	s_cbranch_execz .LBB6_676
; %bb.679:                              ;   in Loop: Header=BB6_677 Depth=4
	s_sleep 1
	s_cbranch_execnz .LBB6_909
; %bb.680:                              ;   in Loop: Header=BB6_677 Depth=4
	ds_load_b64 v[8:9], v0
	s_and_not1_b32 s34, s34, exec_lo
	s_waitcnt lgkmcnt(0)
	v_cmp_ge_u64_e32 vcc_lo, v[8:9], v[10:11]
	s_or_not1_b32 vcc_lo, vcc_lo, exec_lo
	s_branch .LBB6_676
.LBB6_681:                              ;   in Loop: Header=BB6_677 Depth=4
	s_cbranch_execnz .LBB6_923
; %bb.682:                              ;   in Loop: Header=BB6_677 Depth=4
	ds_load_b64 v[8:9], v0
	s_and_not1_b32 s36, s36, exec_lo
	s_mov_b32 s35, 0
	s_mov_b32 s37, -1
	s_waitcnt lgkmcnt(0)
	flat_load_b32 v8, v[8:9] glc
	s_waitcnt vmcnt(0) lgkmcnt(0)
	buffer_gl1_inv
	buffer_gl0_inv
	v_cmp_eq_u32_e32 vcc_lo, 0, v8
	s_and_b32 vcc_lo, vcc_lo, exec_lo
	s_delay_alu instid0(SALU_CYCLE_1)
	s_or_b32 s36, s36, vcc_lo
	s_branch .LBB6_678
.LBB6_683:                              ;   in Loop: Header=BB6_644 Depth=3
	s_or_b32 exec_lo, exec_lo, s30
	s_and_saveexec_b32 vcc_lo, s31
	s_delay_alu instid0(SALU_CYCLE_1)
	s_xor_b32 vcc_lo, exec_lo, vcc_lo
	s_cbranch_execz .LBB6_685
; %bb.684:                              ;   in Loop: Header=BB6_644 Depth=3
	ds_store_b32 v0, v131
	s_cbranch_execnz .LBB6_973
.LBB6_685:                              ;   in Loop: Header=BB6_644 Depth=3
	s_or_b32 exec_lo, exec_lo, vcc_hi
	;;#ASMSTART
	s_wakeup
	;;#ASMEND
.LBB6_686:                              ;   in Loop: Header=BB6_644 Depth=3
	s_or_b32 exec_lo, exec_lo, s29
.LBB6_687:                              ;   in Loop: Header=BB6_644 Depth=3
	s_and_not1_saveexec_b32 s28, s28
	s_cbranch_execz .LBB6_689
; %bb.688:                              ;   in Loop: Header=BB6_644 Depth=3
	s_waitcnt lgkmcnt(0)
	s_waitcnt_vscnt null, 0x0
	buffer_gl1_inv
	buffer_gl0_inv
	s_barrier
.LBB6_689:                              ;   in Loop: Header=BB6_644 Depth=3
	s_or_b32 exec_lo, exec_lo, s28
.LBB6_690:                              ;   in Loop: Header=BB6_644 Depth=3
	s_delay_alu instid0(SALU_CYCLE_1)
	s_or_b32 exec_lo, exec_lo, s11
	s_cbranch_execnz .LBB6_799
; %bb.691:                              ;   in Loop: Header=BB6_644 Depth=3
	ds_load_b32 v8, v0
	v_sub_nc_u32_e32 v9, v27, v55
	s_delay_alu instid0(VALU_DEP_1) | instskip(NEXT) | instid1(VALU_DEP_1)
	v_min_i32_e32 v54, v54, v9
	v_cmp_lt_i32_e32 vcc_lo, 0, v54
	s_waitcnt lgkmcnt(0)
	v_readfirstlane_b32 s11, v8
	v_and_b32_e32 v8, 16, v97
	s_delay_alu instid0(VALU_DEP_2) | instskip(NEXT) | instid1(VALU_DEP_1)
	s_cmp_eq_u32 s11, 0
	v_cmp_ne_u32_e64 s11, 0, v8
	s_cselect_b32 s28, -1, 0
	s_delay_alu instid0(SALU_CYCLE_1)
	s_and_b32 s28, vcc_lo, s28
	s_delay_alu instid0(VALU_DEP_1) | instid1(SALU_CYCLE_1)
	s_and_b32 s28, s11, s28
	s_delay_alu instid0(SALU_CYCLE_1)
	s_and_saveexec_b32 s11, s28
	s_cbranch_execz .LBB6_693
; %bb.692:                              ;   in Loop: Header=BB6_644 Depth=3
	s_waitcnt_vscnt null, 0x0
	buffer_gl1_inv
	buffer_gl0_inv
.LBB6_693:                              ;   in Loop: Header=BB6_644 Depth=3
	s_or_b32 exec_lo, exec_lo, s11
	v_and_b32_e32 v8, 32, v97
	s_mov_b32 s11, exec_lo
	s_delay_alu instid0(VALU_DEP_1)
	v_cmpx_ne_u32_e32 0, v8
	s_cbranch_execz .LBB6_695
; %bb.694:                              ;   in Loop: Header=BB6_644 Depth=3
	v_add_co_u32 v18, vcc_lo, v18, 2
	v_add_co_ci_u32_e32 v19, vcc_lo, 0, v19, vcc_lo
	s_waitcnt_vscnt null, 0x0
	flat_store_b64 v[16:17], v[18:19]
.LBB6_695:                              ;   in Loop: Header=BB6_644 Depth=3
	s_or_b32 exec_lo, exec_lo, s11
	v_add_nc_u32_e32 v55, v54, v55
	s_mov_b32 s11, 0
	s_and_not1_b32 exec_lo, exec_lo, s27
	s_cbranch_execnz .LBB6_644
; %bb.696:                              ;   in Loop: Header=BB6_101 Depth=2
	s_or_b32 exec_lo, exec_lo, s27
.LBB6_697:                              ;   in Loop: Header=BB6_101 Depth=2
	s_delay_alu instid0(SALU_CYCLE_1) | instskip(SKIP_2) | instid1(VALU_DEP_1)
	s_or_b32 exec_lo, exec_lo, s12
	v_add_co_u32 v6, vcc_lo, v6, v34
	v_add_co_ci_u32_e32 v7, vcc_lo, 0, v7, vcc_lo
	v_cmp_ge_i64_e32 vcc_lo, v[6:7], v[50:51]
	s_or_b32 s25, vcc_lo, s25
	s_delay_alu instid0(SALU_CYCLE_1)
	s_and_not1_b32 exec_lo, exec_lo, s25
	s_cbranch_execnz .LBB6_101
; %bb.698:                              ;   in Loop: Header=BB6_65 Depth=1
	s_or_b32 exec_lo, exec_lo, s25
.LBB6_699:                              ;   in Loop: Header=BB6_65 Depth=1
	s_delay_alu instid0(SALU_CYCLE_1)
	s_or_b32 exec_lo, exec_lo, s23
.LBB6_700:                              ;   in Loop: Header=BB6_65 Depth=1
	s_delay_alu instid0(SALU_CYCLE_1)
	s_or_b32 exec_lo, exec_lo, s22
	s_add_i32 s11, s14, 1
	s_cmp_eq_u32 s14, s17
	s_cbranch_scc1 .LBB6_716
; %bb.701:                              ;   in Loop: Header=BB6_65 Depth=1
	s_mov_b32 s14, s11
	s_cbranch_execz .LBB6_65
.LBB6_702:
	s_trap 2
	s_sendmsg_rtn_b32 s0, sendmsg(MSG_RTN_GET_DOORBELL)
	s_mov_b32 ttmp2, m0
	s_waitcnt lgkmcnt(0)
	s_and_b32 s0, s0, 0x3ff
	s_delay_alu instid0(SALU_CYCLE_1) | instskip(NEXT) | instid1(SALU_CYCLE_1)
	s_bitset1_b32 s0, 10
	s_mov_b32 m0, s0
	s_sendmsg sendmsg(MSG_INTERRUPT)
	s_mov_b32 m0, ttmp2
.LBB6_703:                              ; =>This Inner Loop Header: Depth=1
	s_sethalt 5
	s_branch .LBB6_703
.LBB6_704:
	s_trap 2
	s_sendmsg_rtn_b32 s0, sendmsg(MSG_RTN_GET_DOORBELL)
	s_mov_b32 ttmp2, m0
	s_waitcnt lgkmcnt(0)
	s_and_b32 s0, s0, 0x3ff
	s_delay_alu instid0(SALU_CYCLE_1) | instskip(NEXT) | instid1(SALU_CYCLE_1)
	s_bitset1_b32 s0, 10
	s_mov_b32 m0, s0
	s_sendmsg sendmsg(MSG_INTERRUPT)
	s_mov_b32 m0, ttmp2
.LBB6_705:                              ; =>This Inner Loop Header: Depth=1
	s_sethalt 5
	s_branch .LBB6_705
.LBB6_706:
	s_trap 2
	s_sendmsg_rtn_b32 s0, sendmsg(MSG_RTN_GET_DOORBELL)
	s_mov_b32 ttmp2, m0
	s_waitcnt lgkmcnt(0)
	s_and_b32 s0, s0, 0x3ff
	s_delay_alu instid0(SALU_CYCLE_1) | instskip(NEXT) | instid1(SALU_CYCLE_1)
	s_bitset1_b32 s0, 10
	s_mov_b32 m0, s0
	s_sendmsg sendmsg(MSG_INTERRUPT)
	s_mov_b32 m0, ttmp2
.LBB6_707:                              ; =>This Inner Loop Header: Depth=1
	s_sethalt 5
	s_branch .LBB6_707
.LBB6_708:
	s_trap 2
	s_sendmsg_rtn_b32 s0, sendmsg(MSG_RTN_GET_DOORBELL)
	s_mov_b32 ttmp2, m0
	s_waitcnt lgkmcnt(0)
	s_and_b32 s0, s0, 0x3ff
	s_delay_alu instid0(SALU_CYCLE_1) | instskip(NEXT) | instid1(SALU_CYCLE_1)
	s_bitset1_b32 s0, 10
	s_mov_b32 m0, s0
	s_sendmsg sendmsg(MSG_INTERRUPT)
	s_mov_b32 m0, ttmp2
.LBB6_709:                              ; =>This Inner Loop Header: Depth=1
	s_sethalt 5
	s_branch .LBB6_709
.LBB6_710:
	s_trap 2
	s_sendmsg_rtn_b32 s0, sendmsg(MSG_RTN_GET_DOORBELL)
	s_mov_b32 ttmp2, m0
	s_waitcnt lgkmcnt(0)
	s_and_b32 s0, s0, 0x3ff
	s_delay_alu instid0(SALU_CYCLE_1) | instskip(NEXT) | instid1(SALU_CYCLE_1)
	s_bitset1_b32 s0, 10
	s_mov_b32 m0, s0
	s_sendmsg sendmsg(MSG_INTERRUPT)
	s_mov_b32 m0, ttmp2
.LBB6_711:                              ; =>This Inner Loop Header: Depth=1
	s_sethalt 5
	s_branch .LBB6_711
.LBB6_712:
	s_trap 2
	s_sendmsg_rtn_b32 s0, sendmsg(MSG_RTN_GET_DOORBELL)
	s_mov_b32 ttmp2, m0
	s_waitcnt lgkmcnt(0)
	s_and_b32 s0, s0, 0x3ff
	s_delay_alu instid0(SALU_CYCLE_1) | instskip(NEXT) | instid1(SALU_CYCLE_1)
	s_bitset1_b32 s0, 10
	s_mov_b32 m0, s0
	s_sendmsg sendmsg(MSG_INTERRUPT)
	s_mov_b32 m0, ttmp2
.LBB6_713:                              ; =>This Inner Loop Header: Depth=1
	s_sethalt 5
	s_branch .LBB6_713
.LBB6_714:
	s_trap 2
	s_sendmsg_rtn_b32 s0, sendmsg(MSG_RTN_GET_DOORBELL)
	s_mov_b32 ttmp2, m0
	s_waitcnt lgkmcnt(0)
	s_and_b32 s0, s0, 0x3ff
	s_delay_alu instid0(SALU_CYCLE_1) | instskip(NEXT) | instid1(SALU_CYCLE_1)
	s_bitset1_b32 s0, 10
	s_mov_b32 m0, s0
	s_sendmsg sendmsg(MSG_INTERRUPT)
	s_mov_b32 m0, ttmp2
.LBB6_715:                              ; =>This Inner Loop Header: Depth=1
	s_sethalt 5
	s_branch .LBB6_715
.LBB6_716:
	v_and_b32_e32 v0, 0x800, v97
	s_mov_b32 s0, exec_lo
	s_delay_alu instid0(VALU_DEP_1)
	v_cmpx_eq_u32_e32 0, v0
	s_cbranch_execz .LBB6_853
; %bb.717:
	v_and_b32_e32 v0, 48, v97
	s_mov_b32 s1, exec_lo
	s_delay_alu instid0(VALU_DEP_1)
	v_cmpx_ne_u32_e32 0, v0
	s_cbranch_execz .LBB6_719
; %bb.718:
	flat_store_b64 v[14:15], v[18:19] offset:104
.LBB6_719:
	s_or_b32 exec_lo, exec_lo, s1
	v_and_b32_e32 v0, 0x88, v97
	s_mov_b32 s1, exec_lo
	s_delay_alu instid0(VALU_DEP_1)
	v_cmpx_eq_u32_e32 0x88, v0
	s_cbranch_execz .LBB6_747
; %bb.720:
	v_add_nc_u32_e32 v0, 6, v18
	s_mov_b32 s2, 0
                                        ; implicit-def: $sgpr3
	s_delay_alu instid0(VALU_DEP_1) | instskip(NEXT) | instid1(VALU_DEP_1)
	v_and_b32_e32 v0, 7, v0
	v_mad_u64_u32 v[2:3], null, v0, 24, v[4:5]
	v_mov_b32_e32 v0, 0
	s_delay_alu instid0(VALU_DEP_2) | instskip(NEXT) | instid1(VALU_DEP_3)
	v_add_co_u32 v2, vcc_lo, v2, 8
	v_add_co_ci_u32_e32 v3, vcc_lo, 0, v3, vcc_lo
	s_branch .LBB6_737
.LBB6_721:
	s_trap 2
	s_sendmsg_rtn_b32 s0, sendmsg(MSG_RTN_GET_DOORBELL)
	s_mov_b32 ttmp2, m0
	s_waitcnt lgkmcnt(0)
	s_and_b32 s0, s0, 0x3ff
	s_delay_alu instid0(SALU_CYCLE_1) | instskip(NEXT) | instid1(SALU_CYCLE_1)
	s_bitset1_b32 s0, 10
	s_mov_b32 m0, s0
	s_sendmsg sendmsg(MSG_INTERRUPT)
	s_mov_b32 m0, ttmp2
.LBB6_722:                              ; =>This Inner Loop Header: Depth=1
	s_sethalt 5
	s_branch .LBB6_722
.LBB6_723:
	s_trap 2
	s_sendmsg_rtn_b32 s0, sendmsg(MSG_RTN_GET_DOORBELL)
	s_mov_b32 ttmp2, m0
	s_waitcnt lgkmcnt(0)
	s_and_b32 s0, s0, 0x3ff
	s_delay_alu instid0(SALU_CYCLE_1) | instskip(NEXT) | instid1(SALU_CYCLE_1)
	s_bitset1_b32 s0, 10
	s_mov_b32 m0, s0
	s_sendmsg sendmsg(MSG_INTERRUPT)
	s_mov_b32 m0, ttmp2
.LBB6_724:                              ; =>This Inner Loop Header: Depth=1
	s_sethalt 5
	s_branch .LBB6_724
.LBB6_725:
	s_trap 2
	s_sendmsg_rtn_b32 s0, sendmsg(MSG_RTN_GET_DOORBELL)
	s_mov_b32 ttmp2, m0
	s_waitcnt lgkmcnt(0)
	s_and_b32 s0, s0, 0x3ff
	s_delay_alu instid0(SALU_CYCLE_1) | instskip(NEXT) | instid1(SALU_CYCLE_1)
	s_bitset1_b32 s0, 10
	s_mov_b32 m0, s0
	s_sendmsg sendmsg(MSG_INTERRUPT)
	s_mov_b32 m0, ttmp2
.LBB6_726:                              ; =>This Inner Loop Header: Depth=1
	s_sethalt 5
	s_branch .LBB6_726
.LBB6_727:
	s_trap 2
	s_sendmsg_rtn_b32 s0, sendmsg(MSG_RTN_GET_DOORBELL)
	s_mov_b32 ttmp2, m0
	s_waitcnt lgkmcnt(0)
	s_and_b32 s0, s0, 0x3ff
	s_delay_alu instid0(SALU_CYCLE_1) | instskip(NEXT) | instid1(SALU_CYCLE_1)
	s_bitset1_b32 s0, 10
	s_mov_b32 m0, s0
	s_sendmsg sendmsg(MSG_INTERRUPT)
	s_mov_b32 m0, ttmp2
.LBB6_728:                              ; =>This Inner Loop Header: Depth=1
	s_sethalt 5
	s_branch .LBB6_728
.LBB6_729:
	s_trap 2
	s_sendmsg_rtn_b32 s0, sendmsg(MSG_RTN_GET_DOORBELL)
	s_mov_b32 ttmp2, m0
	s_waitcnt lgkmcnt(0)
	s_and_b32 s0, s0, 0x3ff
	s_delay_alu instid0(SALU_CYCLE_1) | instskip(NEXT) | instid1(SALU_CYCLE_1)
	s_bitset1_b32 s0, 10
	s_mov_b32 m0, s0
	s_sendmsg sendmsg(MSG_INTERRUPT)
	s_mov_b32 m0, ttmp2
.LBB6_730:                              ; =>This Inner Loop Header: Depth=1
	s_sethalt 5
	s_branch .LBB6_730
.LBB6_731:
	s_trap 2
	s_sendmsg_rtn_b32 s0, sendmsg(MSG_RTN_GET_DOORBELL)
	s_mov_b32 ttmp2, m0
	s_waitcnt lgkmcnt(0)
	s_and_b32 s0, s0, 0x3ff
	s_delay_alu instid0(SALU_CYCLE_1) | instskip(NEXT) | instid1(SALU_CYCLE_1)
	s_bitset1_b32 s0, 10
	s_mov_b32 m0, s0
	s_sendmsg sendmsg(MSG_INTERRUPT)
	s_mov_b32 m0, ttmp2
.LBB6_732:                              ; =>This Inner Loop Header: Depth=1
	s_sethalt 5
	s_branch .LBB6_732
.LBB6_733:                              ;   in Loop: Header=BB6_737 Depth=1
	s_or_b32 exec_lo, exec_lo, s10
	v_mov_b32_e32 v4, 0
	s_or_not1_b32 s7, s7, exec_lo
.LBB6_734:                              ;   in Loop: Header=BB6_737 Depth=1
	s_or_b32 exec_lo, exec_lo, s6
	s_delay_alu instid0(VALU_DEP_1)
	v_mov_b32_e32 v0, v4
	s_and_b32 s6, s7, exec_lo
.LBB6_735:                              ;   in Loop: Header=BB6_737 Depth=1
	s_or_b32 exec_lo, exec_lo, s5
	s_xor_b32 s5, s6, -1
	s_and_not1_b32 s3, s3, exec_lo
	s_and_b32 s5, s5, exec_lo
	s_delay_alu instid0(SALU_CYCLE_1)
	s_or_b32 s3, s3, s5
.LBB6_736:                              ;   in Loop: Header=BB6_737 Depth=1
	s_or_b32 exec_lo, exec_lo, s4
	s_delay_alu instid0(SALU_CYCLE_1) | instskip(NEXT) | instid1(SALU_CYCLE_1)
	s_and_b32 s4, exec_lo, s3
	s_or_b32 s2, s4, s2
	s_delay_alu instid0(SALU_CYCLE_1)
	s_and_not1_b32 exec_lo, exec_lo, s2
	s_cbranch_execz .LBB6_746
.LBB6_737:                              ; =>This Inner Loop Header: Depth=1
	flat_load_b64 v[4:5], v[2:3] glc dlc
	s_waitcnt vmcnt(0)
	s_or_b32 s3, s3, exec_lo
	s_mov_b32 s4, exec_lo
	s_waitcnt lgkmcnt(0)
	v_cmpx_ne_u64_e32 -1, v[4:5]
	s_cbranch_execz .LBB6_736
; %bb.738:                              ;   in Loop: Header=BB6_737 Depth=1
	v_and_b32_e32 v4, 64, v97
	s_mov_b32 s6, 0
	s_mov_b32 s5, exec_lo
	s_delay_alu instid0(VALU_DEP_1)
	v_cmpx_eq_u32_e32 0, v4
	s_cbranch_execz .LBB6_735
; %bb.739:                              ;   in Loop: Header=BB6_737 Depth=1
	v_add_nc_u32_e32 v4, 1, v0
	s_mov_b32 s7, -1
	s_mov_b32 s6, exec_lo
	v_cmpx_lt_i32_e32 0x270e, v0
	s_cbranch_execz .LBB6_734
; %bb.740:                              ;   in Loop: Header=BB6_737 Depth=1
	s_cbranch_execnz .LBB6_744
; %bb.741:                              ;   in Loop: Header=BB6_737 Depth=1
	ds_load_b64 v[4:5], v0
	s_mov_b32 s10, exec_lo
	s_waitcnt lgkmcnt(0)
	s_waitcnt_vscnt null, 0x0
	flat_load_b32 v0, v[4:5] glc
	s_waitcnt vmcnt(0) lgkmcnt(0)
	buffer_gl1_inv
	buffer_gl0_inv
	v_cmpx_ne_u32_e32 0, v0
	s_cbranch_execz .LBB6_733
; %bb.742:                              ;   in Loop: Header=BB6_737 Depth=1
	ds_store_b32 v0, v0
	s_cbranch_execnz .LBB6_760
; %bb.743:                              ;   in Loop: Header=BB6_737 Depth=1
	v_or_b32_e32 v97, 64, v97
	s_xor_b32 s7, exec_lo, -1
	s_branch .LBB6_733
.LBB6_744:
	s_trap 2
	s_sendmsg_rtn_b32 s0, sendmsg(MSG_RTN_GET_DOORBELL)
	s_mov_b32 ttmp2, m0
	s_waitcnt lgkmcnt(0)
	s_and_b32 s0, s0, 0x3ff
	s_delay_alu instid0(SALU_CYCLE_1) | instskip(NEXT) | instid1(SALU_CYCLE_1)
	s_bitset1_b32 s0, 10
	s_mov_b32 m0, s0
	s_sendmsg sendmsg(MSG_INTERRUPT)
	s_mov_b32 m0, ttmp2
.LBB6_745:                              ; =>This Inner Loop Header: Depth=1
	s_sethalt 5
	s_branch .LBB6_745
.LBB6_746:
	s_or_b32 exec_lo, exec_lo, s2
.LBB6_747:
	s_delay_alu instid0(SALU_CYCLE_1) | instskip(SKIP_2) | instid1(VALU_DEP_1)
	s_or_b32 exec_lo, exec_lo, s1
	v_and_b32_e32 v0, 0x2000, v97
	s_mov_b32 s1, exec_lo
	v_cmpx_ne_u32_e32 0, v0
	s_cbranch_execz .LBB6_750
; %bb.748:
	s_cbranch_execnz .LBB6_758
; %bb.749:
	ds_load_b64 v[2:3], v0
	s_waitcnt lgkmcnt(0)
	flat_store_b64 v[12:13], v[2:3] offset:16
.LBB6_750:
	s_or_b32 exec_lo, exec_lo, s1
	v_cmp_ne_u32_e32 vcc_lo, 32, v1
	s_and_b32 exec_lo, exec_lo, vcc_lo
	s_cbranch_execz .LBB6_853
; %bb.751:
	s_mov_b32 s1, exec_lo
	v_cmpx_ne_u32_e64 v30, v1
	s_xor_b32 s1, exec_lo, s1
	s_cbranch_execz .LBB6_851
; %bb.752:
	v_and_b32_e32 v0, 31, v31
	s_mov_b32 s2, exec_lo
	s_delay_alu instid0(VALU_DEP_1)
	v_cmpx_eq_u32_e32 0, v0
	s_cbranch_execz .LBB6_850
; %bb.753:
	s_mov_b32 s4, exec_lo
	s_mov_b32 s3, exec_lo
	v_mbcnt_lo_u32_b32 v0, s4, 0
	s_waitcnt lgkmcnt(0)
	s_waitcnt_vscnt null, 0x0
	buffer_gl1_inv
	buffer_gl0_inv
	v_cmpx_eq_u32_e32 0, v0
	s_cbranch_execz .LBB6_755
; %bb.754:
	s_bcnt1_i32_b32 s4, s4
	s_delay_alu instid0(SALU_CYCLE_1)
	v_dual_mov_b32 v3, 0 :: v_dual_mov_b32 v2, s4
	ds_add_u64 v0, v[2:3]
	s_cbranch_execnz .LBB6_777
.LBB6_755:
	s_or_b32 exec_lo, exec_lo, s3
	s_cbranch_execnz .LBB6_768
; %bb.756:
	v_ashrrev_i32_e32 v0, 31, v1
	s_mov_b32 s3, exec_lo
	s_delay_alu instid0(VALU_DEP_1) | instskip(NEXT) | instid1(VALU_DEP_1)
	v_lshrrev_b32_e32 v0, 27, v0
	v_add_nc_u32_e32 v0, v1, v0
	ds_load_b64 v[2:3], v0
	v_ashrrev_i32_e32 v0, 5, v0
	s_delay_alu instid0(VALU_DEP_1) | instskip(SKIP_1) | instid1(VALU_DEP_2)
	v_ashrrev_i32_e32 v1, 31, v0
	v_add_co_u32 v0, vcc_lo, v10, v0
	v_add_co_ci_u32_e32 v1, vcc_lo, v11, v1, vcc_lo
	s_waitcnt lgkmcnt(0)
	s_delay_alu instid0(VALU_DEP_1)
	v_cmpx_lt_u64_e64 v[2:3], v[0:1]
	s_cbranch_execz .LBB6_849
; %bb.757:
	s_mov_b32 s4, 0
	s_mov_b32 s7, 0
                                        ; implicit-def: $sgpr5
                                        ; implicit-def: $sgpr6
	s_branch .LBB6_771
.LBB6_758:
	s_trap 2
	s_sendmsg_rtn_b32 s0, sendmsg(MSG_RTN_GET_DOORBELL)
	s_mov_b32 ttmp2, m0
	s_waitcnt lgkmcnt(0)
	s_and_b32 s0, s0, 0x3ff
	s_delay_alu instid0(SALU_CYCLE_1) | instskip(NEXT) | instid1(SALU_CYCLE_1)
	s_bitset1_b32 s0, 10
	s_mov_b32 m0, s0
	s_sendmsg sendmsg(MSG_INTERRUPT)
	s_mov_b32 m0, ttmp2
.LBB6_759:                              ; =>This Inner Loop Header: Depth=1
	s_sethalt 5
	s_branch .LBB6_759
.LBB6_760:
	s_trap 2
	s_sendmsg_rtn_b32 s0, sendmsg(MSG_RTN_GET_DOORBELL)
	s_mov_b32 ttmp2, m0
	s_waitcnt lgkmcnt(0)
	s_and_b32 s0, s0, 0x3ff
	s_delay_alu instid0(SALU_CYCLE_1) | instskip(NEXT) | instid1(SALU_CYCLE_1)
	s_bitset1_b32 s0, 10
	s_mov_b32 m0, s0
	s_sendmsg sendmsg(MSG_INTERRUPT)
	s_mov_b32 m0, ttmp2
.LBB6_761:                              ; =>This Inner Loop Header: Depth=1
	s_sethalt 5
	s_branch .LBB6_761
.LBB6_762:
	s_trap 2
	s_sendmsg_rtn_b32 s0, sendmsg(MSG_RTN_GET_DOORBELL)
	s_mov_b32 ttmp2, m0
	s_waitcnt lgkmcnt(0)
	s_and_b32 s0, s0, 0x3ff
	s_delay_alu instid0(SALU_CYCLE_1) | instskip(NEXT) | instid1(SALU_CYCLE_1)
	s_bitset1_b32 s0, 10
	s_mov_b32 m0, s0
	s_sendmsg sendmsg(MSG_INTERRUPT)
	s_mov_b32 m0, ttmp2
.LBB6_763:                              ; =>This Inner Loop Header: Depth=1
	s_sethalt 5
	s_branch .LBB6_763
.LBB6_764:
	s_trap 2
	s_sendmsg_rtn_b32 s0, sendmsg(MSG_RTN_GET_DOORBELL)
	s_mov_b32 ttmp2, m0
	s_waitcnt lgkmcnt(0)
	s_and_b32 s0, s0, 0x3ff
	s_delay_alu instid0(SALU_CYCLE_1) | instskip(NEXT) | instid1(SALU_CYCLE_1)
	s_bitset1_b32 s0, 10
	s_mov_b32 m0, s0
	s_sendmsg sendmsg(MSG_INTERRUPT)
	s_mov_b32 m0, ttmp2
.LBB6_765:                              ; =>This Inner Loop Header: Depth=1
	s_sethalt 5
	s_branch .LBB6_765
.LBB6_766:
	s_trap 2
	s_sendmsg_rtn_b32 s0, sendmsg(MSG_RTN_GET_DOORBELL)
	s_mov_b32 ttmp2, m0
	s_waitcnt lgkmcnt(0)
	s_and_b32 s0, s0, 0x3ff
	s_delay_alu instid0(SALU_CYCLE_1) | instskip(NEXT) | instid1(SALU_CYCLE_1)
	s_bitset1_b32 s0, 10
	s_mov_b32 m0, s0
	s_sendmsg sendmsg(MSG_INTERRUPT)
	s_mov_b32 m0, ttmp2
.LBB6_767:                              ; =>This Inner Loop Header: Depth=1
	s_sethalt 5
	s_branch .LBB6_767
.LBB6_768:
	s_trap 2
	s_sendmsg_rtn_b32 s0, sendmsg(MSG_RTN_GET_DOORBELL)
	s_mov_b32 ttmp2, m0
	s_waitcnt lgkmcnt(0)
	s_and_b32 s0, s0, 0x3ff
	s_delay_alu instid0(SALU_CYCLE_1) | instskip(NEXT) | instid1(SALU_CYCLE_1)
	s_bitset1_b32 s0, 10
	s_mov_b32 m0, s0
	s_sendmsg sendmsg(MSG_INTERRUPT)
	s_mov_b32 m0, ttmp2
.LBB6_769:                              ; =>This Inner Loop Header: Depth=1
	s_sethalt 5
	s_branch .LBB6_769
.LBB6_770:                              ;   in Loop: Header=BB6_771 Depth=1
	s_or_b32 exec_lo, exec_lo, s12
	s_delay_alu instid0(SALU_CYCLE_1) | instskip(NEXT) | instid1(SALU_CYCLE_1)
	s_and_b32 s10, exec_lo, s11
	s_or_b32 s4, s10, s4
	s_and_not1_b32 s5, s5, exec_lo
	s_and_b32 s10, s6, exec_lo
	s_delay_alu instid0(SALU_CYCLE_1)
	s_or_b32 s5, s5, s10
	s_and_not1_b32 exec_lo, exec_lo, s4
	s_cbranch_execz .LBB6_847
.LBB6_771:                              ; =>This Inner Loop Header: Depth=1
	s_add_i32 s7, s7, 1
                                        ; implicit-def: $sgpr11
	s_delay_alu instid0(SALU_CYCLE_1) | instskip(SKIP_1) | instid1(SALU_CYCLE_1)
	s_cmpk_lg_i32 s7, 0x2710
	s_cselect_b32 s10, -1, 0
	s_and_b32 vcc_lo, exec_lo, s10
	s_cbranch_vccz .LBB6_775
.LBB6_772:                              ;   in Loop: Header=BB6_771 Depth=1
	s_and_not1_b32 s6, s6, exec_lo
	s_and_b32 s12, s11, exec_lo
	s_mov_b32 s11, -1
	s_or_b32 s6, s6, s12
	s_and_saveexec_b32 s12, s10
	s_cbranch_execz .LBB6_770
; %bb.773:                              ;   in Loop: Header=BB6_771 Depth=1
	s_sleep 1
	s_cbranch_execnz .LBB6_785
; %bb.774:                              ;   in Loop: Header=BB6_771 Depth=1
	ds_load_b64 v[2:3], v0
	s_and_not1_b32 s6, s6, exec_lo
	s_waitcnt lgkmcnt(0)
	v_cmp_ge_u64_e32 vcc_lo, v[2:3], v[0:1]
	s_or_not1_b32 s11, vcc_lo, exec_lo
	s_branch .LBB6_770
.LBB6_775:                              ;   in Loop: Header=BB6_771 Depth=1
	s_cbranch_execnz .LBB6_787
; %bb.776:                              ;   in Loop: Header=BB6_771 Depth=1
	ds_load_b64 v[2:3], v0
	s_and_not1_b32 s10, s10, exec_lo
	s_mov_b32 s7, 0
	s_mov_b32 s11, -1
	s_waitcnt lgkmcnt(0)
	flat_load_b32 v2, v[2:3] glc
	s_waitcnt vmcnt(0) lgkmcnt(0)
	buffer_gl1_inv
	buffer_gl0_inv
	v_cmp_eq_u32_e32 vcc_lo, 0, v2
	s_and_b32 s12, vcc_lo, exec_lo
	s_delay_alu instid0(SALU_CYCLE_1)
	s_or_b32 s10, s10, s12
	s_branch .LBB6_772
.LBB6_777:
	s_trap 2
	s_sendmsg_rtn_b32 s0, sendmsg(MSG_RTN_GET_DOORBELL)
	s_mov_b32 ttmp2, m0
	s_waitcnt lgkmcnt(0)
	s_and_b32 s0, s0, 0x3ff
	s_delay_alu instid0(SALU_CYCLE_1) | instskip(NEXT) | instid1(SALU_CYCLE_1)
	s_bitset1_b32 s0, 10
	s_mov_b32 m0, s0
	s_sendmsg sendmsg(MSG_INTERRUPT)
	s_mov_b32 m0, ttmp2
.LBB6_778:                              ; =>This Inner Loop Header: Depth=1
	s_sethalt 5
	s_branch .LBB6_778
.LBB6_779:
	s_trap 2
	s_sendmsg_rtn_b32 s0, sendmsg(MSG_RTN_GET_DOORBELL)
	s_mov_b32 ttmp2, m0
	s_waitcnt lgkmcnt(0)
	s_and_b32 s0, s0, 0x3ff
	s_delay_alu instid0(SALU_CYCLE_1) | instskip(NEXT) | instid1(SALU_CYCLE_1)
	s_bitset1_b32 s0, 10
	s_mov_b32 m0, s0
	s_sendmsg sendmsg(MSG_INTERRUPT)
	s_mov_b32 m0, ttmp2
.LBB6_780:                              ; =>This Inner Loop Header: Depth=1
	s_sethalt 5
	s_branch .LBB6_780
.LBB6_781:
	s_trap 2
	s_sendmsg_rtn_b32 s0, sendmsg(MSG_RTN_GET_DOORBELL)
	s_mov_b32 ttmp2, m0
	s_waitcnt lgkmcnt(0)
	s_and_b32 s0, s0, 0x3ff
	s_delay_alu instid0(SALU_CYCLE_1) | instskip(NEXT) | instid1(SALU_CYCLE_1)
	s_bitset1_b32 s0, 10
	s_mov_b32 m0, s0
	s_sendmsg sendmsg(MSG_INTERRUPT)
	s_mov_b32 m0, ttmp2
.LBB6_782:                              ; =>This Inner Loop Header: Depth=1
	s_sethalt 5
	s_branch .LBB6_782
.LBB6_783:
	s_trap 2
	s_sendmsg_rtn_b32 s0, sendmsg(MSG_RTN_GET_DOORBELL)
	s_mov_b32 ttmp2, m0
	s_waitcnt lgkmcnt(0)
	s_and_b32 s0, s0, 0x3ff
	s_delay_alu instid0(SALU_CYCLE_1) | instskip(NEXT) | instid1(SALU_CYCLE_1)
	s_bitset1_b32 s0, 10
	s_mov_b32 m0, s0
	s_sendmsg sendmsg(MSG_INTERRUPT)
	s_mov_b32 m0, ttmp2
.LBB6_784:                              ; =>This Inner Loop Header: Depth=1
	s_sethalt 5
	s_branch .LBB6_784
.LBB6_785:
	s_trap 2
	s_sendmsg_rtn_b32 s0, sendmsg(MSG_RTN_GET_DOORBELL)
	s_mov_b32 ttmp2, m0
	s_waitcnt lgkmcnt(0)
	s_and_b32 s0, s0, 0x3ff
	s_delay_alu instid0(SALU_CYCLE_1) | instskip(NEXT) | instid1(SALU_CYCLE_1)
	s_bitset1_b32 s0, 10
	s_mov_b32 m0, s0
	s_sendmsg sendmsg(MSG_INTERRUPT)
	s_mov_b32 m0, ttmp2
.LBB6_786:                              ; =>This Inner Loop Header: Depth=1
	s_sethalt 5
	s_branch .LBB6_786
.LBB6_787:
	s_trap 2
	s_sendmsg_rtn_b32 s0, sendmsg(MSG_RTN_GET_DOORBELL)
	s_mov_b32 ttmp2, m0
	s_waitcnt lgkmcnt(0)
	s_and_b32 s0, s0, 0x3ff
	s_delay_alu instid0(SALU_CYCLE_1) | instskip(NEXT) | instid1(SALU_CYCLE_1)
	s_bitset1_b32 s0, 10
	s_mov_b32 m0, s0
	s_sendmsg sendmsg(MSG_INTERRUPT)
	s_mov_b32 m0, ttmp2
.LBB6_788:                              ; =>This Inner Loop Header: Depth=1
	s_sethalt 5
	s_branch .LBB6_788
.LBB6_789:
	s_trap 2
	s_sendmsg_rtn_b32 s0, sendmsg(MSG_RTN_GET_DOORBELL)
	s_mov_b32 ttmp2, m0
	s_waitcnt lgkmcnt(0)
	s_and_b32 s0, s0, 0x3ff
	s_delay_alu instid0(SALU_CYCLE_1) | instskip(NEXT) | instid1(SALU_CYCLE_1)
	s_bitset1_b32 s0, 10
	s_mov_b32 m0, s0
	s_sendmsg sendmsg(MSG_INTERRUPT)
	s_mov_b32 m0, ttmp2
.LBB6_790:                              ; =>This Inner Loop Header: Depth=1
	s_sethalt 5
	s_branch .LBB6_790
.LBB6_791:
	s_trap 2
	s_sendmsg_rtn_b32 s0, sendmsg(MSG_RTN_GET_DOORBELL)
	s_mov_b32 ttmp2, m0
	s_waitcnt lgkmcnt(0)
	s_and_b32 s0, s0, 0x3ff
	s_delay_alu instid0(SALU_CYCLE_1) | instskip(NEXT) | instid1(SALU_CYCLE_1)
	s_bitset1_b32 s0, 10
	s_mov_b32 m0, s0
	s_sendmsg sendmsg(MSG_INTERRUPT)
	s_mov_b32 m0, ttmp2
.LBB6_792:                              ; =>This Inner Loop Header: Depth=1
	s_sethalt 5
	s_branch .LBB6_792
.LBB6_793:
	s_trap 2
	s_sendmsg_rtn_b32 s0, sendmsg(MSG_RTN_GET_DOORBELL)
	s_mov_b32 ttmp2, m0
	s_waitcnt lgkmcnt(0)
	s_and_b32 s0, s0, 0x3ff
	s_delay_alu instid0(SALU_CYCLE_1) | instskip(NEXT) | instid1(SALU_CYCLE_1)
	s_bitset1_b32 s0, 10
	s_mov_b32 m0, s0
	s_sendmsg sendmsg(MSG_INTERRUPT)
	s_mov_b32 m0, ttmp2
.LBB6_794:                              ; =>This Inner Loop Header: Depth=1
	s_sethalt 5
	s_branch .LBB6_794
.LBB6_795:
	s_trap 2
	s_sendmsg_rtn_b32 s0, sendmsg(MSG_RTN_GET_DOORBELL)
	s_mov_b32 ttmp2, m0
	s_waitcnt lgkmcnt(0)
	s_and_b32 s0, s0, 0x3ff
	s_delay_alu instid0(SALU_CYCLE_1) | instskip(NEXT) | instid1(SALU_CYCLE_1)
	s_bitset1_b32 s0, 10
	s_mov_b32 m0, s0
	s_sendmsg sendmsg(MSG_INTERRUPT)
	s_mov_b32 m0, ttmp2
.LBB6_796:                              ; =>This Inner Loop Header: Depth=1
	s_sethalt 5
	s_branch .LBB6_796
.LBB6_797:
	s_trap 2
	s_sendmsg_rtn_b32 s0, sendmsg(MSG_RTN_GET_DOORBELL)
	s_mov_b32 ttmp2, m0
	s_waitcnt lgkmcnt(0)
	s_and_b32 s0, s0, 0x3ff
	s_delay_alu instid0(SALU_CYCLE_1) | instskip(NEXT) | instid1(SALU_CYCLE_1)
	s_bitset1_b32 s0, 10
	s_mov_b32 m0, s0
	s_sendmsg sendmsg(MSG_INTERRUPT)
	s_mov_b32 m0, ttmp2
.LBB6_798:                              ; =>This Inner Loop Header: Depth=1
	s_sethalt 5
	s_branch .LBB6_798
.LBB6_799:
	s_trap 2
	s_sendmsg_rtn_b32 s0, sendmsg(MSG_RTN_GET_DOORBELL)
	s_mov_b32 ttmp2, m0
	s_waitcnt lgkmcnt(0)
	s_and_b32 s0, s0, 0x3ff
	s_delay_alu instid0(SALU_CYCLE_1) | instskip(NEXT) | instid1(SALU_CYCLE_1)
	s_bitset1_b32 s0, 10
	s_mov_b32 m0, s0
	s_sendmsg sendmsg(MSG_INTERRUPT)
	s_mov_b32 m0, ttmp2
.LBB6_800:                              ; =>This Inner Loop Header: Depth=1
	s_sethalt 5
	s_branch .LBB6_800
.LBB6_801:
	s_trap 2
	s_sendmsg_rtn_b32 s0, sendmsg(MSG_RTN_GET_DOORBELL)
	s_mov_b32 ttmp2, m0
	s_waitcnt lgkmcnt(0)
	s_and_b32 s0, s0, 0x3ff
	s_delay_alu instid0(SALU_CYCLE_1) | instskip(NEXT) | instid1(SALU_CYCLE_1)
	s_bitset1_b32 s0, 10
	s_mov_b32 m0, s0
	s_sendmsg sendmsg(MSG_INTERRUPT)
	s_mov_b32 m0, ttmp2
.LBB6_802:                              ; =>This Inner Loop Header: Depth=1
	s_sethalt 5
	s_branch .LBB6_802
.LBB6_803:
	s_trap 2
	s_sendmsg_rtn_b32 s0, sendmsg(MSG_RTN_GET_DOORBELL)
	s_mov_b32 ttmp2, m0
	s_waitcnt lgkmcnt(0)
	s_and_b32 s0, s0, 0x3ff
	s_delay_alu instid0(SALU_CYCLE_1) | instskip(NEXT) | instid1(SALU_CYCLE_1)
	s_bitset1_b32 s0, 10
	s_mov_b32 m0, s0
	s_sendmsg sendmsg(MSG_INTERRUPT)
	s_mov_b32 m0, ttmp2
.LBB6_804:                              ; =>This Inner Loop Header: Depth=1
	s_sethalt 5
	s_branch .LBB6_804
.LBB6_805:
	s_trap 2
	s_sendmsg_rtn_b32 s0, sendmsg(MSG_RTN_GET_DOORBELL)
	s_mov_b32 ttmp2, m0
	s_waitcnt lgkmcnt(0)
	s_and_b32 s0, s0, 0x3ff
	s_delay_alu instid0(SALU_CYCLE_1) | instskip(NEXT) | instid1(SALU_CYCLE_1)
	s_bitset1_b32 s0, 10
	s_mov_b32 m0, s0
	s_sendmsg sendmsg(MSG_INTERRUPT)
	s_mov_b32 m0, ttmp2
.LBB6_806:                              ; =>This Inner Loop Header: Depth=1
	s_sethalt 5
	s_branch .LBB6_806
.LBB6_807:
	s_trap 2
	s_sendmsg_rtn_b32 s0, sendmsg(MSG_RTN_GET_DOORBELL)
	s_mov_b32 ttmp2, m0
	s_waitcnt lgkmcnt(0)
	s_and_b32 s0, s0, 0x3ff
	s_delay_alu instid0(SALU_CYCLE_1) | instskip(NEXT) | instid1(SALU_CYCLE_1)
	s_bitset1_b32 s0, 10
	s_mov_b32 m0, s0
	s_sendmsg sendmsg(MSG_INTERRUPT)
	s_mov_b32 m0, ttmp2
.LBB6_808:                              ; =>This Inner Loop Header: Depth=1
	s_sethalt 5
	s_branch .LBB6_808
.LBB6_809:
	s_trap 2
	s_sendmsg_rtn_b32 s0, sendmsg(MSG_RTN_GET_DOORBELL)
	s_mov_b32 ttmp2, m0
	s_waitcnt lgkmcnt(0)
	s_and_b32 s0, s0, 0x3ff
	s_delay_alu instid0(SALU_CYCLE_1) | instskip(NEXT) | instid1(SALU_CYCLE_1)
	s_bitset1_b32 s0, 10
	s_mov_b32 m0, s0
	s_sendmsg sendmsg(MSG_INTERRUPT)
	s_mov_b32 m0, ttmp2
.LBB6_810:                              ; =>This Inner Loop Header: Depth=1
	s_sethalt 5
	s_branch .LBB6_810
.LBB6_811:
	s_trap 2
	s_sendmsg_rtn_b32 s0, sendmsg(MSG_RTN_GET_DOORBELL)
	s_mov_b32 ttmp2, m0
	s_waitcnt lgkmcnt(0)
	s_and_b32 s0, s0, 0x3ff
	s_delay_alu instid0(SALU_CYCLE_1) | instskip(NEXT) | instid1(SALU_CYCLE_1)
	s_bitset1_b32 s0, 10
	s_mov_b32 m0, s0
	s_sendmsg sendmsg(MSG_INTERRUPT)
	s_mov_b32 m0, ttmp2
.LBB6_812:                              ; =>This Inner Loop Header: Depth=1
	s_sethalt 5
	s_branch .LBB6_812
.LBB6_813:
	s_trap 2
	s_sendmsg_rtn_b32 s0, sendmsg(MSG_RTN_GET_DOORBELL)
	s_mov_b32 ttmp2, m0
	s_waitcnt lgkmcnt(0)
	s_and_b32 s0, s0, 0x3ff
	s_delay_alu instid0(SALU_CYCLE_1) | instskip(NEXT) | instid1(SALU_CYCLE_1)
	s_bitset1_b32 s0, 10
	s_mov_b32 m0, s0
	s_sendmsg sendmsg(MSG_INTERRUPT)
	s_mov_b32 m0, ttmp2
.LBB6_814:                              ; =>This Inner Loop Header: Depth=1
	s_sethalt 5
	s_branch .LBB6_814
.LBB6_815:
	s_trap 2
	s_sendmsg_rtn_b32 s0, sendmsg(MSG_RTN_GET_DOORBELL)
	s_mov_b32 ttmp2, m0
	s_waitcnt lgkmcnt(0)
	s_and_b32 s0, s0, 0x3ff
	s_delay_alu instid0(SALU_CYCLE_1) | instskip(NEXT) | instid1(SALU_CYCLE_1)
	s_bitset1_b32 s0, 10
	s_mov_b32 m0, s0
	s_sendmsg sendmsg(MSG_INTERRUPT)
	s_mov_b32 m0, ttmp2
.LBB6_816:                              ; =>This Inner Loop Header: Depth=1
	s_sethalt 5
	s_branch .LBB6_816
.LBB6_817:
	s_trap 2
	s_sendmsg_rtn_b32 s0, sendmsg(MSG_RTN_GET_DOORBELL)
	s_mov_b32 ttmp2, m0
	s_waitcnt lgkmcnt(0)
	s_and_b32 s0, s0, 0x3ff
	s_delay_alu instid0(SALU_CYCLE_1) | instskip(NEXT) | instid1(SALU_CYCLE_1)
	s_bitset1_b32 s0, 10
	s_mov_b32 m0, s0
	s_sendmsg sendmsg(MSG_INTERRUPT)
	s_mov_b32 m0, ttmp2
.LBB6_818:                              ; =>This Inner Loop Header: Depth=1
	s_sethalt 5
	s_branch .LBB6_818
.LBB6_819:
	s_trap 2
	s_sendmsg_rtn_b32 s0, sendmsg(MSG_RTN_GET_DOORBELL)
	s_mov_b32 ttmp2, m0
	s_waitcnt lgkmcnt(0)
	s_and_b32 s0, s0, 0x3ff
	s_delay_alu instid0(SALU_CYCLE_1) | instskip(NEXT) | instid1(SALU_CYCLE_1)
	s_bitset1_b32 s0, 10
	s_mov_b32 m0, s0
	s_sendmsg sendmsg(MSG_INTERRUPT)
	s_mov_b32 m0, ttmp2
.LBB6_820:                              ; =>This Inner Loop Header: Depth=1
	s_sethalt 5
	s_branch .LBB6_820
.LBB6_821:
	s_trap 2
	s_sendmsg_rtn_b32 s0, sendmsg(MSG_RTN_GET_DOORBELL)
	s_mov_b32 ttmp2, m0
	s_waitcnt lgkmcnt(0)
	s_and_b32 s0, s0, 0x3ff
	s_delay_alu instid0(SALU_CYCLE_1) | instskip(NEXT) | instid1(SALU_CYCLE_1)
	s_bitset1_b32 s0, 10
	s_mov_b32 m0, s0
	s_sendmsg sendmsg(MSG_INTERRUPT)
	s_mov_b32 m0, ttmp2
.LBB6_822:                              ; =>This Inner Loop Header: Depth=1
	s_sethalt 5
	s_branch .LBB6_822
.LBB6_823:
	s_trap 2
	s_sendmsg_rtn_b32 s0, sendmsg(MSG_RTN_GET_DOORBELL)
	s_mov_b32 ttmp2, m0
	s_waitcnt lgkmcnt(0)
	s_and_b32 s0, s0, 0x3ff
	s_delay_alu instid0(SALU_CYCLE_1) | instskip(NEXT) | instid1(SALU_CYCLE_1)
	s_bitset1_b32 s0, 10
	s_mov_b32 m0, s0
	s_sendmsg sendmsg(MSG_INTERRUPT)
	s_mov_b32 m0, ttmp2
.LBB6_824:                              ; =>This Inner Loop Header: Depth=1
	s_sethalt 5
	s_branch .LBB6_824
.LBB6_825:
	s_trap 2
	s_sendmsg_rtn_b32 s0, sendmsg(MSG_RTN_GET_DOORBELL)
	s_mov_b32 ttmp2, m0
	s_waitcnt lgkmcnt(0)
	s_and_b32 s0, s0, 0x3ff
	s_delay_alu instid0(SALU_CYCLE_1) | instskip(NEXT) | instid1(SALU_CYCLE_1)
	s_bitset1_b32 s0, 10
	s_mov_b32 m0, s0
	s_sendmsg sendmsg(MSG_INTERRUPT)
	s_mov_b32 m0, ttmp2
.LBB6_826:                              ; =>This Inner Loop Header: Depth=1
	s_sethalt 5
	s_branch .LBB6_826
.LBB6_827:
	s_trap 2
	s_sendmsg_rtn_b32 s0, sendmsg(MSG_RTN_GET_DOORBELL)
	s_mov_b32 ttmp2, m0
	s_waitcnt lgkmcnt(0)
	s_and_b32 s0, s0, 0x3ff
	s_delay_alu instid0(SALU_CYCLE_1) | instskip(NEXT) | instid1(SALU_CYCLE_1)
	s_bitset1_b32 s0, 10
	s_mov_b32 m0, s0
	s_sendmsg sendmsg(MSG_INTERRUPT)
	s_mov_b32 m0, ttmp2
.LBB6_828:                              ; =>This Inner Loop Header: Depth=1
	s_sethalt 5
	s_branch .LBB6_828
.LBB6_829:
	s_trap 2
	s_sendmsg_rtn_b32 s0, sendmsg(MSG_RTN_GET_DOORBELL)
	s_mov_b32 ttmp2, m0
	s_waitcnt lgkmcnt(0)
	s_and_b32 s0, s0, 0x3ff
	s_delay_alu instid0(SALU_CYCLE_1) | instskip(NEXT) | instid1(SALU_CYCLE_1)
	s_bitset1_b32 s0, 10
	s_mov_b32 m0, s0
	s_sendmsg sendmsg(MSG_INTERRUPT)
	s_mov_b32 m0, ttmp2
.LBB6_830:                              ; =>This Inner Loop Header: Depth=1
	s_sethalt 5
	s_branch .LBB6_830
.LBB6_831:
	s_trap 2
	s_sendmsg_rtn_b32 s0, sendmsg(MSG_RTN_GET_DOORBELL)
	s_mov_b32 ttmp2, m0
	s_waitcnt lgkmcnt(0)
	s_and_b32 s0, s0, 0x3ff
	s_delay_alu instid0(SALU_CYCLE_1) | instskip(NEXT) | instid1(SALU_CYCLE_1)
	s_bitset1_b32 s0, 10
	s_mov_b32 m0, s0
	s_sendmsg sendmsg(MSG_INTERRUPT)
	s_mov_b32 m0, ttmp2
.LBB6_832:                              ; =>This Inner Loop Header: Depth=1
	s_sethalt 5
	s_branch .LBB6_832
.LBB6_833:
	s_trap 2
	s_sendmsg_rtn_b32 s0, sendmsg(MSG_RTN_GET_DOORBELL)
	s_mov_b32 ttmp2, m0
	s_waitcnt lgkmcnt(0)
	s_and_b32 s0, s0, 0x3ff
	s_delay_alu instid0(SALU_CYCLE_1) | instskip(NEXT) | instid1(SALU_CYCLE_1)
	s_bitset1_b32 s0, 10
	s_mov_b32 m0, s0
	s_sendmsg sendmsg(MSG_INTERRUPT)
	s_mov_b32 m0, ttmp2
.LBB6_834:                              ; =>This Inner Loop Header: Depth=1
	s_sethalt 5
	s_branch .LBB6_834
.LBB6_835:
	s_trap 2
	s_sendmsg_rtn_b32 s0, sendmsg(MSG_RTN_GET_DOORBELL)
	s_mov_b32 ttmp2, m0
	s_waitcnt lgkmcnt(0)
	s_and_b32 s0, s0, 0x3ff
	s_delay_alu instid0(SALU_CYCLE_1) | instskip(NEXT) | instid1(SALU_CYCLE_1)
	s_bitset1_b32 s0, 10
	s_mov_b32 m0, s0
	s_sendmsg sendmsg(MSG_INTERRUPT)
	s_mov_b32 m0, ttmp2
.LBB6_836:                              ; =>This Inner Loop Header: Depth=1
	s_sethalt 5
	s_branch .LBB6_836
.LBB6_837:
	s_trap 2
	s_sendmsg_rtn_b32 s0, sendmsg(MSG_RTN_GET_DOORBELL)
	s_mov_b32 ttmp2, m0
	s_waitcnt lgkmcnt(0)
	s_and_b32 s0, s0, 0x3ff
	s_delay_alu instid0(SALU_CYCLE_1) | instskip(NEXT) | instid1(SALU_CYCLE_1)
	s_bitset1_b32 s0, 10
	s_mov_b32 m0, s0
	s_sendmsg sendmsg(MSG_INTERRUPT)
	s_mov_b32 m0, ttmp2
.LBB6_838:                              ; =>This Inner Loop Header: Depth=1
	s_sethalt 5
	s_branch .LBB6_838
.LBB6_839:
	s_trap 2
	s_sendmsg_rtn_b32 s0, sendmsg(MSG_RTN_GET_DOORBELL)
	s_mov_b32 ttmp2, m0
	s_waitcnt lgkmcnt(0)
	s_and_b32 s0, s0, 0x3ff
	s_delay_alu instid0(SALU_CYCLE_1) | instskip(NEXT) | instid1(SALU_CYCLE_1)
	s_bitset1_b32 s0, 10
	s_mov_b32 m0, s0
	s_sendmsg sendmsg(MSG_INTERRUPT)
	s_mov_b32 m0, ttmp2
.LBB6_840:                              ; =>This Inner Loop Header: Depth=1
	s_sethalt 5
	s_branch .LBB6_840
.LBB6_841:
	s_trap 2
	s_sendmsg_rtn_b32 s0, sendmsg(MSG_RTN_GET_DOORBELL)
	s_mov_b32 ttmp2, m0
	s_waitcnt lgkmcnt(0)
	s_and_b32 s0, s0, 0x3ff
	s_delay_alu instid0(SALU_CYCLE_1) | instskip(NEXT) | instid1(SALU_CYCLE_1)
	s_bitset1_b32 s0, 10
	s_mov_b32 m0, s0
	s_sendmsg sendmsg(MSG_INTERRUPT)
	s_mov_b32 m0, ttmp2
.LBB6_842:                              ; =>This Inner Loop Header: Depth=1
	s_sethalt 5
	s_branch .LBB6_842
.LBB6_843:
	s_trap 2
	s_sendmsg_rtn_b32 s0, sendmsg(MSG_RTN_GET_DOORBELL)
	s_mov_b32 ttmp2, m0
	s_waitcnt lgkmcnt(0)
	s_and_b32 s0, s0, 0x3ff
	s_delay_alu instid0(SALU_CYCLE_1) | instskip(NEXT) | instid1(SALU_CYCLE_1)
	s_bitset1_b32 s0, 10
	s_mov_b32 m0, s0
	s_sendmsg sendmsg(MSG_INTERRUPT)
	s_mov_b32 m0, ttmp2
.LBB6_844:                              ; =>This Inner Loop Header: Depth=1
	s_sethalt 5
	s_branch .LBB6_844
.LBB6_845:
	s_trap 2
	s_sendmsg_rtn_b32 s0, sendmsg(MSG_RTN_GET_DOORBELL)
	s_mov_b32 ttmp2, m0
	s_waitcnt lgkmcnt(0)
	s_and_b32 s0, s0, 0x3ff
	s_delay_alu instid0(SALU_CYCLE_1) | instskip(NEXT) | instid1(SALU_CYCLE_1)
	s_bitset1_b32 s0, 10
	s_mov_b32 m0, s0
	s_sendmsg sendmsg(MSG_INTERRUPT)
	s_mov_b32 m0, ttmp2
.LBB6_846:                              ; =>This Inner Loop Header: Depth=1
	s_sethalt 5
	s_branch .LBB6_846
.LBB6_847:
	s_or_b32 exec_lo, exec_lo, s4
	s_and_saveexec_b32 s4, s5
	s_delay_alu instid0(SALU_CYCLE_1)
	s_xor_b32 s4, exec_lo, s4
	s_cbranch_execz .LBB6_849
; %bb.848:
	v_mov_b32_e32 v0, 1
	ds_store_b32 v0, v0
	s_cbranch_execnz .LBB6_897
.LBB6_849:
	s_or_b32 exec_lo, exec_lo, s3
	;;#ASMSTART
	s_wakeup
	;;#ASMEND
.LBB6_850:
	s_or_b32 exec_lo, exec_lo, s2
.LBB6_851:
	s_and_not1_saveexec_b32 s1, s1
	s_cbranch_execz .LBB6_853
; %bb.852:
	s_waitcnt lgkmcnt(0)
	s_waitcnt_vscnt null, 0x0
	buffer_gl1_inv
	buffer_gl0_inv
	s_barrier
.LBB6_853:
	s_or_b32 exec_lo, exec_lo, s0
.LBB6_854:
	s_and_not1_saveexec_b32 s21, s16
	s_cbranch_execz .LBB6_856
; %bb.855:
	s_getpc_b64 s[0:1]
	s_add_u32 s0, s0, __PRETTY_FUNCTION__._ZN10PrimitivesIa7FuncSumIaE12FanSymmetricILi1EELi0E11ProtoSimpleILi2ELi2ELi0ELi4ELi0ELi0EELi0ELb0ELi0ELi0ELi0EEC2EiiPKiS8_PKvPvmhhhP15ncclDevWorkCollP14ncclDevWorkP2pii@rel32@lo+4
	s_addc_u32 s1, s1, __PRETTY_FUNCTION__._ZN10PrimitivesIa7FuncSumIaE12FanSymmetricILi1EELi0E11ProtoSimpleILi2ELi2ELi0ELi4ELi0ELi0EELi0ELb0ELi0ELi0ELi0EEC2EiiPKiS8_PKvPvmhhhP15ncclDevWorkCollP14ncclDevWorkP2pii@rel32@hi+12
	s_delay_alu instid0(SALU_CYCLE_1) | instskip(SKIP_3) | instid1(SALU_CYCLE_1)
	v_dual_mov_b32 v0, s0 :: v_dual_mov_b32 v1, s1
	s_getpc_b64 s[2:3]
	s_add_u32 s2, s2, __assert_fail@rel32@lo+4
	s_addc_u32 s3, s3, __assert_fail@rel32@hi+12
	s_swappc_b64 s[30:31], s[2:3]
	; divergent unreachable
.LBB6_856:
	s_or_b32 exec_lo, exec_lo, s21
	s_clause 0xa
	scratch_load_b32 v58, off, s33
	scratch_load_b32 v57, off, s33 offset:4
	scratch_load_b32 v56, off, s33 offset:8
	;; [unrolled: 1-line block ×10, first 2 shown]
	v_readlane_b32 s30, v59, 8
	v_readlane_b32 s31, v59, 9
	;; [unrolled: 1-line block ×11, first 2 shown]
	s_or_saveexec_b32 s1, -1
	scratch_load_b32 v59, off, s33 offset:44 ; 4-byte Folded Reload
	s_mov_b32 exec_lo, s1
	s_addk_i32 s32, 0xffc0
	s_mov_b32 s33, s0
	s_waitcnt vmcnt(0) lgkmcnt(0)
	s_setpc_b64 s[30:31]
.LBB6_857:
	s_trap 2
	s_sendmsg_rtn_b32 s0, sendmsg(MSG_RTN_GET_DOORBELL)
	s_mov_b32 ttmp2, m0
	s_waitcnt lgkmcnt(0)
	s_and_b32 s0, s0, 0x3ff
	s_delay_alu instid0(SALU_CYCLE_1) | instskip(NEXT) | instid1(SALU_CYCLE_1)
	s_bitset1_b32 s0, 10
	s_mov_b32 m0, s0
	s_sendmsg sendmsg(MSG_INTERRUPT)
	s_mov_b32 m0, ttmp2
.LBB6_858:                              ; =>This Inner Loop Header: Depth=1
	s_sethalt 5
	s_branch .LBB6_858
.LBB6_859:
	s_trap 2
	s_sendmsg_rtn_b32 s0, sendmsg(MSG_RTN_GET_DOORBELL)
	s_mov_b32 ttmp2, m0
	s_waitcnt lgkmcnt(0)
	s_and_b32 s0, s0, 0x3ff
	s_delay_alu instid0(SALU_CYCLE_1) | instskip(NEXT) | instid1(SALU_CYCLE_1)
	s_bitset1_b32 s0, 10
	s_mov_b32 m0, s0
	s_sendmsg sendmsg(MSG_INTERRUPT)
	s_mov_b32 m0, ttmp2
.LBB6_860:                              ; =>This Inner Loop Header: Depth=1
	s_sethalt 5
	s_branch .LBB6_860
.LBB6_861:
	s_trap 2
	s_sendmsg_rtn_b32 s0, sendmsg(MSG_RTN_GET_DOORBELL)
	s_mov_b32 ttmp2, m0
	s_waitcnt lgkmcnt(0)
	s_and_b32 s0, s0, 0x3ff
	s_delay_alu instid0(SALU_CYCLE_1) | instskip(NEXT) | instid1(SALU_CYCLE_1)
	s_bitset1_b32 s0, 10
	s_mov_b32 m0, s0
	s_sendmsg sendmsg(MSG_INTERRUPT)
	s_mov_b32 m0, ttmp2
.LBB6_862:                              ; =>This Inner Loop Header: Depth=1
	s_sethalt 5
	s_branch .LBB6_862
.LBB6_863:
	s_trap 2
	s_sendmsg_rtn_b32 s0, sendmsg(MSG_RTN_GET_DOORBELL)
	s_mov_b32 ttmp2, m0
	s_waitcnt lgkmcnt(0)
	s_and_b32 s0, s0, 0x3ff
	s_delay_alu instid0(SALU_CYCLE_1) | instskip(NEXT) | instid1(SALU_CYCLE_1)
	s_bitset1_b32 s0, 10
	s_mov_b32 m0, s0
	s_sendmsg sendmsg(MSG_INTERRUPT)
	s_mov_b32 m0, ttmp2
.LBB6_864:                              ; =>This Inner Loop Header: Depth=1
	s_sethalt 5
	s_branch .LBB6_864
.LBB6_865:
	s_trap 2
	s_sendmsg_rtn_b32 s0, sendmsg(MSG_RTN_GET_DOORBELL)
	s_mov_b32 ttmp2, m0
	s_waitcnt lgkmcnt(0)
	s_and_b32 s0, s0, 0x3ff
	s_delay_alu instid0(SALU_CYCLE_1) | instskip(NEXT) | instid1(SALU_CYCLE_1)
	s_bitset1_b32 s0, 10
	s_mov_b32 m0, s0
	s_sendmsg sendmsg(MSG_INTERRUPT)
	s_mov_b32 m0, ttmp2
.LBB6_866:                              ; =>This Inner Loop Header: Depth=1
	s_sethalt 5
	s_branch .LBB6_866
.LBB6_867:
	s_trap 2
	s_sendmsg_rtn_b32 s0, sendmsg(MSG_RTN_GET_DOORBELL)
	s_mov_b32 ttmp2, m0
	s_waitcnt lgkmcnt(0)
	s_and_b32 s0, s0, 0x3ff
	s_delay_alu instid0(SALU_CYCLE_1) | instskip(NEXT) | instid1(SALU_CYCLE_1)
	s_bitset1_b32 s0, 10
	s_mov_b32 m0, s0
	s_sendmsg sendmsg(MSG_INTERRUPT)
	s_mov_b32 m0, ttmp2
.LBB6_868:                              ; =>This Inner Loop Header: Depth=1
	s_sethalt 5
	s_branch .LBB6_868
.LBB6_869:
	s_trap 2
	s_sendmsg_rtn_b32 s0, sendmsg(MSG_RTN_GET_DOORBELL)
	s_mov_b32 ttmp2, m0
	s_waitcnt lgkmcnt(0)
	s_and_b32 s0, s0, 0x3ff
	s_delay_alu instid0(SALU_CYCLE_1) | instskip(NEXT) | instid1(SALU_CYCLE_1)
	s_bitset1_b32 s0, 10
	s_mov_b32 m0, s0
	s_sendmsg sendmsg(MSG_INTERRUPT)
	s_mov_b32 m0, ttmp2
.LBB6_870:                              ; =>This Inner Loop Header: Depth=1
	s_sethalt 5
	s_branch .LBB6_870
.LBB6_871:
	s_trap 2
	s_sendmsg_rtn_b32 s0, sendmsg(MSG_RTN_GET_DOORBELL)
	s_mov_b32 ttmp2, m0
	s_waitcnt lgkmcnt(0)
	s_and_b32 s0, s0, 0x3ff
	s_delay_alu instid0(SALU_CYCLE_1) | instskip(NEXT) | instid1(SALU_CYCLE_1)
	s_bitset1_b32 s0, 10
	s_mov_b32 m0, s0
	s_sendmsg sendmsg(MSG_INTERRUPT)
	s_mov_b32 m0, ttmp2
.LBB6_872:                              ; =>This Inner Loop Header: Depth=1
	s_sethalt 5
	s_branch .LBB6_872
.LBB6_873:
	s_trap 2
	s_sendmsg_rtn_b32 s0, sendmsg(MSG_RTN_GET_DOORBELL)
	s_mov_b32 ttmp2, m0
	s_waitcnt lgkmcnt(0)
	s_and_b32 s0, s0, 0x3ff
	s_delay_alu instid0(SALU_CYCLE_1) | instskip(NEXT) | instid1(SALU_CYCLE_1)
	s_bitset1_b32 s0, 10
	s_mov_b32 m0, s0
	s_sendmsg sendmsg(MSG_INTERRUPT)
	s_mov_b32 m0, ttmp2
.LBB6_874:                              ; =>This Inner Loop Header: Depth=1
	s_sethalt 5
	s_branch .LBB6_874
.LBB6_875:
	s_trap 2
	s_sendmsg_rtn_b32 s0, sendmsg(MSG_RTN_GET_DOORBELL)
	s_mov_b32 ttmp2, m0
	s_waitcnt lgkmcnt(0)
	s_and_b32 s0, s0, 0x3ff
	s_delay_alu instid0(SALU_CYCLE_1) | instskip(NEXT) | instid1(SALU_CYCLE_1)
	s_bitset1_b32 s0, 10
	s_mov_b32 m0, s0
	s_sendmsg sendmsg(MSG_INTERRUPT)
	s_mov_b32 m0, ttmp2
.LBB6_876:                              ; =>This Inner Loop Header: Depth=1
	s_sethalt 5
	s_branch .LBB6_876
.LBB6_877:
	s_trap 2
	s_sendmsg_rtn_b32 s0, sendmsg(MSG_RTN_GET_DOORBELL)
	s_mov_b32 ttmp2, m0
	s_waitcnt lgkmcnt(0)
	s_and_b32 s0, s0, 0x3ff
	s_delay_alu instid0(SALU_CYCLE_1) | instskip(NEXT) | instid1(SALU_CYCLE_1)
	s_bitset1_b32 s0, 10
	s_mov_b32 m0, s0
	s_sendmsg sendmsg(MSG_INTERRUPT)
	s_mov_b32 m0, ttmp2
.LBB6_878:                              ; =>This Inner Loop Header: Depth=1
	s_sethalt 5
	s_branch .LBB6_878
.LBB6_879:
	s_trap 2
	s_sendmsg_rtn_b32 s0, sendmsg(MSG_RTN_GET_DOORBELL)
	s_mov_b32 ttmp2, m0
	s_waitcnt lgkmcnt(0)
	s_and_b32 s0, s0, 0x3ff
	s_delay_alu instid0(SALU_CYCLE_1) | instskip(NEXT) | instid1(SALU_CYCLE_1)
	s_bitset1_b32 s0, 10
	s_mov_b32 m0, s0
	s_sendmsg sendmsg(MSG_INTERRUPT)
	s_mov_b32 m0, ttmp2
.LBB6_880:                              ; =>This Inner Loop Header: Depth=1
	s_sethalt 5
	s_branch .LBB6_880
.LBB6_881:
	s_trap 2
	s_sendmsg_rtn_b32 s0, sendmsg(MSG_RTN_GET_DOORBELL)
	s_mov_b32 ttmp2, m0
	s_waitcnt lgkmcnt(0)
	s_and_b32 s0, s0, 0x3ff
	s_delay_alu instid0(SALU_CYCLE_1) | instskip(NEXT) | instid1(SALU_CYCLE_1)
	s_bitset1_b32 s0, 10
	s_mov_b32 m0, s0
	s_sendmsg sendmsg(MSG_INTERRUPT)
	s_mov_b32 m0, ttmp2
.LBB6_882:                              ; =>This Inner Loop Header: Depth=1
	s_sethalt 5
	s_branch .LBB6_882
.LBB6_883:
	s_trap 2
	s_sendmsg_rtn_b32 s0, sendmsg(MSG_RTN_GET_DOORBELL)
	s_mov_b32 ttmp2, m0
	s_waitcnt lgkmcnt(0)
	s_and_b32 s0, s0, 0x3ff
	s_delay_alu instid0(SALU_CYCLE_1) | instskip(NEXT) | instid1(SALU_CYCLE_1)
	s_bitset1_b32 s0, 10
	s_mov_b32 m0, s0
	s_sendmsg sendmsg(MSG_INTERRUPT)
	s_mov_b32 m0, ttmp2
.LBB6_884:                              ; =>This Inner Loop Header: Depth=1
	s_sethalt 5
	s_branch .LBB6_884
.LBB6_885:
	s_trap 2
	s_sendmsg_rtn_b32 s0, sendmsg(MSG_RTN_GET_DOORBELL)
	s_mov_b32 ttmp2, m0
	s_waitcnt lgkmcnt(0)
	s_and_b32 s0, s0, 0x3ff
	s_delay_alu instid0(SALU_CYCLE_1) | instskip(NEXT) | instid1(SALU_CYCLE_1)
	s_bitset1_b32 s0, 10
	s_mov_b32 m0, s0
	s_sendmsg sendmsg(MSG_INTERRUPT)
	s_mov_b32 m0, ttmp2
.LBB6_886:                              ; =>This Inner Loop Header: Depth=1
	s_sethalt 5
	s_branch .LBB6_886
.LBB6_887:
	s_trap 2
	s_sendmsg_rtn_b32 s0, sendmsg(MSG_RTN_GET_DOORBELL)
	s_mov_b32 ttmp2, m0
	s_waitcnt lgkmcnt(0)
	s_and_b32 s0, s0, 0x3ff
	s_delay_alu instid0(SALU_CYCLE_1) | instskip(NEXT) | instid1(SALU_CYCLE_1)
	s_bitset1_b32 s0, 10
	s_mov_b32 m0, s0
	s_sendmsg sendmsg(MSG_INTERRUPT)
	s_mov_b32 m0, ttmp2
.LBB6_888:                              ; =>This Inner Loop Header: Depth=1
	s_sethalt 5
	s_branch .LBB6_888
.LBB6_889:
	s_trap 2
	s_sendmsg_rtn_b32 s0, sendmsg(MSG_RTN_GET_DOORBELL)
	s_mov_b32 ttmp2, m0
	s_waitcnt lgkmcnt(0)
	s_and_b32 s0, s0, 0x3ff
	s_delay_alu instid0(SALU_CYCLE_1) | instskip(NEXT) | instid1(SALU_CYCLE_1)
	s_bitset1_b32 s0, 10
	s_mov_b32 m0, s0
	s_sendmsg sendmsg(MSG_INTERRUPT)
	s_mov_b32 m0, ttmp2
.LBB6_890:                              ; =>This Inner Loop Header: Depth=1
	s_sethalt 5
	s_branch .LBB6_890
.LBB6_891:
	s_trap 2
	s_sendmsg_rtn_b32 s0, sendmsg(MSG_RTN_GET_DOORBELL)
	s_mov_b32 ttmp2, m0
	s_waitcnt lgkmcnt(0)
	s_and_b32 s0, s0, 0x3ff
	s_delay_alu instid0(SALU_CYCLE_1) | instskip(NEXT) | instid1(SALU_CYCLE_1)
	s_bitset1_b32 s0, 10
	s_mov_b32 m0, s0
	s_sendmsg sendmsg(MSG_INTERRUPT)
	s_mov_b32 m0, ttmp2
.LBB6_892:                              ; =>This Inner Loop Header: Depth=1
	s_sethalt 5
	s_branch .LBB6_892
.LBB6_893:
	s_trap 2
	s_sendmsg_rtn_b32 s0, sendmsg(MSG_RTN_GET_DOORBELL)
	s_mov_b32 ttmp2, m0
	s_waitcnt lgkmcnt(0)
	s_and_b32 s0, s0, 0x3ff
	s_delay_alu instid0(SALU_CYCLE_1) | instskip(NEXT) | instid1(SALU_CYCLE_1)
	s_bitset1_b32 s0, 10
	s_mov_b32 m0, s0
	s_sendmsg sendmsg(MSG_INTERRUPT)
	s_mov_b32 m0, ttmp2
.LBB6_894:                              ; =>This Inner Loop Header: Depth=1
	s_sethalt 5
	s_branch .LBB6_894
.LBB6_895:
	s_trap 2
	s_sendmsg_rtn_b32 s0, sendmsg(MSG_RTN_GET_DOORBELL)
	s_mov_b32 ttmp2, m0
	s_waitcnt lgkmcnt(0)
	s_and_b32 s0, s0, 0x3ff
	s_delay_alu instid0(SALU_CYCLE_1) | instskip(NEXT) | instid1(SALU_CYCLE_1)
	s_bitset1_b32 s0, 10
	s_mov_b32 m0, s0
	s_sendmsg sendmsg(MSG_INTERRUPT)
	s_mov_b32 m0, ttmp2
.LBB6_896:                              ; =>This Inner Loop Header: Depth=1
	s_sethalt 5
	s_branch .LBB6_896
.LBB6_897:
	s_trap 2
	s_sendmsg_rtn_b32 s0, sendmsg(MSG_RTN_GET_DOORBELL)
	s_mov_b32 ttmp2, m0
	s_waitcnt lgkmcnt(0)
	s_and_b32 s0, s0, 0x3ff
	s_delay_alu instid0(SALU_CYCLE_1) | instskip(NEXT) | instid1(SALU_CYCLE_1)
	s_bitset1_b32 s0, 10
	s_mov_b32 m0, s0
	s_sendmsg sendmsg(MSG_INTERRUPT)
	s_mov_b32 m0, ttmp2
.LBB6_898:                              ; =>This Inner Loop Header: Depth=1
	s_sethalt 5
	s_branch .LBB6_898
.LBB6_899:
	s_trap 2
	s_sendmsg_rtn_b32 s0, sendmsg(MSG_RTN_GET_DOORBELL)
	s_mov_b32 ttmp2, m0
	s_waitcnt lgkmcnt(0)
	s_and_b32 s0, s0, 0x3ff
	s_delay_alu instid0(SALU_CYCLE_1) | instskip(NEXT) | instid1(SALU_CYCLE_1)
	s_bitset1_b32 s0, 10
	s_mov_b32 m0, s0
	s_sendmsg sendmsg(MSG_INTERRUPT)
	s_mov_b32 m0, ttmp2
.LBB6_900:                              ; =>This Inner Loop Header: Depth=1
	s_sethalt 5
	s_branch .LBB6_900
.LBB6_901:
	s_trap 2
	s_sendmsg_rtn_b32 s0, sendmsg(MSG_RTN_GET_DOORBELL)
	s_mov_b32 ttmp2, m0
	s_waitcnt lgkmcnt(0)
	s_and_b32 s0, s0, 0x3ff
	s_delay_alu instid0(SALU_CYCLE_1) | instskip(NEXT) | instid1(SALU_CYCLE_1)
	s_bitset1_b32 s0, 10
	s_mov_b32 m0, s0
	s_sendmsg sendmsg(MSG_INTERRUPT)
	s_mov_b32 m0, ttmp2
.LBB6_902:                              ; =>This Inner Loop Header: Depth=1
	s_sethalt 5
	s_branch .LBB6_902
.LBB6_903:
	s_trap 2
	s_sendmsg_rtn_b32 s0, sendmsg(MSG_RTN_GET_DOORBELL)
	s_mov_b32 ttmp2, m0
	s_waitcnt lgkmcnt(0)
	s_and_b32 s0, s0, 0x3ff
	s_delay_alu instid0(SALU_CYCLE_1) | instskip(NEXT) | instid1(SALU_CYCLE_1)
	s_bitset1_b32 s0, 10
	s_mov_b32 m0, s0
	s_sendmsg sendmsg(MSG_INTERRUPT)
	s_mov_b32 m0, ttmp2
.LBB6_904:                              ; =>This Inner Loop Header: Depth=1
	s_sethalt 5
	s_branch .LBB6_904
.LBB6_905:
	s_trap 2
	s_sendmsg_rtn_b32 s0, sendmsg(MSG_RTN_GET_DOORBELL)
	s_mov_b32 ttmp2, m0
	s_waitcnt lgkmcnt(0)
	s_and_b32 s0, s0, 0x3ff
	s_delay_alu instid0(SALU_CYCLE_1) | instskip(NEXT) | instid1(SALU_CYCLE_1)
	s_bitset1_b32 s0, 10
	s_mov_b32 m0, s0
	s_sendmsg sendmsg(MSG_INTERRUPT)
	s_mov_b32 m0, ttmp2
.LBB6_906:                              ; =>This Inner Loop Header: Depth=1
	s_sethalt 5
	s_branch .LBB6_906
.LBB6_907:
	s_trap 2
	s_sendmsg_rtn_b32 s0, sendmsg(MSG_RTN_GET_DOORBELL)
	s_mov_b32 ttmp2, m0
	s_waitcnt lgkmcnt(0)
	s_and_b32 s0, s0, 0x3ff
	s_delay_alu instid0(SALU_CYCLE_1) | instskip(NEXT) | instid1(SALU_CYCLE_1)
	s_bitset1_b32 s0, 10
	s_mov_b32 m0, s0
	s_sendmsg sendmsg(MSG_INTERRUPT)
	s_mov_b32 m0, ttmp2
.LBB6_908:                              ; =>This Inner Loop Header: Depth=1
	s_sethalt 5
	s_branch .LBB6_908
.LBB6_909:
	s_trap 2
	s_sendmsg_rtn_b32 s0, sendmsg(MSG_RTN_GET_DOORBELL)
	s_mov_b32 ttmp2, m0
	s_waitcnt lgkmcnt(0)
	s_and_b32 s0, s0, 0x3ff
	s_delay_alu instid0(SALU_CYCLE_1) | instskip(NEXT) | instid1(SALU_CYCLE_1)
	s_bitset1_b32 s0, 10
	s_mov_b32 m0, s0
	s_sendmsg sendmsg(MSG_INTERRUPT)
	s_mov_b32 m0, ttmp2
.LBB6_910:                              ; =>This Inner Loop Header: Depth=1
	s_sethalt 5
	s_branch .LBB6_910
.LBB6_911:
	s_trap 2
	s_sendmsg_rtn_b32 s0, sendmsg(MSG_RTN_GET_DOORBELL)
	s_mov_b32 ttmp2, m0
	s_waitcnt lgkmcnt(0)
	s_and_b32 s0, s0, 0x3ff
	s_delay_alu instid0(SALU_CYCLE_1) | instskip(NEXT) | instid1(SALU_CYCLE_1)
	s_bitset1_b32 s0, 10
	s_mov_b32 m0, s0
	s_sendmsg sendmsg(MSG_INTERRUPT)
	s_mov_b32 m0, ttmp2
.LBB6_912:                              ; =>This Inner Loop Header: Depth=1
	s_sethalt 5
	s_branch .LBB6_912
.LBB6_913:
	s_trap 2
	s_sendmsg_rtn_b32 s0, sendmsg(MSG_RTN_GET_DOORBELL)
	s_mov_b32 ttmp2, m0
	s_waitcnt lgkmcnt(0)
	s_and_b32 s0, s0, 0x3ff
	s_delay_alu instid0(SALU_CYCLE_1) | instskip(NEXT) | instid1(SALU_CYCLE_1)
	s_bitset1_b32 s0, 10
	s_mov_b32 m0, s0
	s_sendmsg sendmsg(MSG_INTERRUPT)
	s_mov_b32 m0, ttmp2
.LBB6_914:                              ; =>This Inner Loop Header: Depth=1
	s_sethalt 5
	s_branch .LBB6_914
.LBB6_915:
	s_trap 2
	s_sendmsg_rtn_b32 s0, sendmsg(MSG_RTN_GET_DOORBELL)
	s_mov_b32 ttmp2, m0
	s_waitcnt lgkmcnt(0)
	s_and_b32 s0, s0, 0x3ff
	s_delay_alu instid0(SALU_CYCLE_1) | instskip(NEXT) | instid1(SALU_CYCLE_1)
	s_bitset1_b32 s0, 10
	s_mov_b32 m0, s0
	s_sendmsg sendmsg(MSG_INTERRUPT)
	s_mov_b32 m0, ttmp2
.LBB6_916:                              ; =>This Inner Loop Header: Depth=1
	s_sethalt 5
	s_branch .LBB6_916
.LBB6_917:
	s_trap 2
	s_sendmsg_rtn_b32 s0, sendmsg(MSG_RTN_GET_DOORBELL)
	s_mov_b32 ttmp2, m0
	s_waitcnt lgkmcnt(0)
	s_and_b32 s0, s0, 0x3ff
	s_delay_alu instid0(SALU_CYCLE_1) | instskip(NEXT) | instid1(SALU_CYCLE_1)
	s_bitset1_b32 s0, 10
	s_mov_b32 m0, s0
	s_sendmsg sendmsg(MSG_INTERRUPT)
	s_mov_b32 m0, ttmp2
.LBB6_918:                              ; =>This Inner Loop Header: Depth=1
	s_sethalt 5
	s_branch .LBB6_918
.LBB6_919:
	s_trap 2
	s_sendmsg_rtn_b32 s0, sendmsg(MSG_RTN_GET_DOORBELL)
	s_mov_b32 ttmp2, m0
	s_waitcnt lgkmcnt(0)
	s_and_b32 s0, s0, 0x3ff
	s_delay_alu instid0(SALU_CYCLE_1) | instskip(NEXT) | instid1(SALU_CYCLE_1)
	s_bitset1_b32 s0, 10
	s_mov_b32 m0, s0
	s_sendmsg sendmsg(MSG_INTERRUPT)
	s_mov_b32 m0, ttmp2
.LBB6_920:                              ; =>This Inner Loop Header: Depth=1
	s_sethalt 5
	s_branch .LBB6_920
.LBB6_921:
	s_trap 2
	s_sendmsg_rtn_b32 s0, sendmsg(MSG_RTN_GET_DOORBELL)
	s_mov_b32 ttmp2, m0
	s_waitcnt lgkmcnt(0)
	s_and_b32 s0, s0, 0x3ff
	s_delay_alu instid0(SALU_CYCLE_1) | instskip(NEXT) | instid1(SALU_CYCLE_1)
	s_bitset1_b32 s0, 10
	s_mov_b32 m0, s0
	s_sendmsg sendmsg(MSG_INTERRUPT)
	s_mov_b32 m0, ttmp2
.LBB6_922:                              ; =>This Inner Loop Header: Depth=1
	s_sethalt 5
	s_branch .LBB6_922
.LBB6_923:
	s_trap 2
	s_sendmsg_rtn_b32 s0, sendmsg(MSG_RTN_GET_DOORBELL)
	s_mov_b32 ttmp2, m0
	s_waitcnt lgkmcnt(0)
	s_and_b32 s0, s0, 0x3ff
	s_delay_alu instid0(SALU_CYCLE_1) | instskip(NEXT) | instid1(SALU_CYCLE_1)
	s_bitset1_b32 s0, 10
	s_mov_b32 m0, s0
	s_sendmsg sendmsg(MSG_INTERRUPT)
	s_mov_b32 m0, ttmp2
.LBB6_924:                              ; =>This Inner Loop Header: Depth=1
	s_sethalt 5
	s_branch .LBB6_924
.LBB6_925:
	s_trap 2
	s_sendmsg_rtn_b32 s0, sendmsg(MSG_RTN_GET_DOORBELL)
	s_mov_b32 ttmp2, m0
	s_waitcnt lgkmcnt(0)
	s_and_b32 s0, s0, 0x3ff
	s_delay_alu instid0(SALU_CYCLE_1) | instskip(NEXT) | instid1(SALU_CYCLE_1)
	s_bitset1_b32 s0, 10
	s_mov_b32 m0, s0
	s_sendmsg sendmsg(MSG_INTERRUPT)
	s_mov_b32 m0, ttmp2
.LBB6_926:                              ; =>This Inner Loop Header: Depth=1
	s_sethalt 5
	s_branch .LBB6_926
.LBB6_927:
	s_trap 2
	s_sendmsg_rtn_b32 s0, sendmsg(MSG_RTN_GET_DOORBELL)
	s_mov_b32 ttmp2, m0
	s_waitcnt lgkmcnt(0)
	s_and_b32 s0, s0, 0x3ff
	s_delay_alu instid0(SALU_CYCLE_1) | instskip(NEXT) | instid1(SALU_CYCLE_1)
	s_bitset1_b32 s0, 10
	s_mov_b32 m0, s0
	s_sendmsg sendmsg(MSG_INTERRUPT)
	s_mov_b32 m0, ttmp2
.LBB6_928:                              ; =>This Inner Loop Header: Depth=1
	s_sethalt 5
	s_branch .LBB6_928
.LBB6_929:
	s_trap 2
	s_sendmsg_rtn_b32 s0, sendmsg(MSG_RTN_GET_DOORBELL)
	s_mov_b32 ttmp2, m0
	s_waitcnt lgkmcnt(0)
	s_and_b32 s0, s0, 0x3ff
	s_delay_alu instid0(SALU_CYCLE_1) | instskip(NEXT) | instid1(SALU_CYCLE_1)
	s_bitset1_b32 s0, 10
	s_mov_b32 m0, s0
	s_sendmsg sendmsg(MSG_INTERRUPT)
	s_mov_b32 m0, ttmp2
.LBB6_930:                              ; =>This Inner Loop Header: Depth=1
	s_sethalt 5
	s_branch .LBB6_930
.LBB6_931:
	s_trap 2
	s_sendmsg_rtn_b32 s0, sendmsg(MSG_RTN_GET_DOORBELL)
	s_mov_b32 ttmp2, m0
	s_waitcnt lgkmcnt(0)
	s_and_b32 s0, s0, 0x3ff
	s_delay_alu instid0(SALU_CYCLE_1) | instskip(NEXT) | instid1(SALU_CYCLE_1)
	s_bitset1_b32 s0, 10
	s_mov_b32 m0, s0
	s_sendmsg sendmsg(MSG_INTERRUPT)
	s_mov_b32 m0, ttmp2
.LBB6_932:                              ; =>This Inner Loop Header: Depth=1
	s_sethalt 5
	s_branch .LBB6_932
.LBB6_933:
	s_trap 2
	s_sendmsg_rtn_b32 s0, sendmsg(MSG_RTN_GET_DOORBELL)
	s_mov_b32 ttmp2, m0
	s_waitcnt lgkmcnt(0)
	s_and_b32 s0, s0, 0x3ff
	s_delay_alu instid0(SALU_CYCLE_1) | instskip(NEXT) | instid1(SALU_CYCLE_1)
	s_bitset1_b32 s0, 10
	s_mov_b32 m0, s0
	s_sendmsg sendmsg(MSG_INTERRUPT)
	s_mov_b32 m0, ttmp2
.LBB6_934:                              ; =>This Inner Loop Header: Depth=1
	s_sethalt 5
	s_branch .LBB6_934
.LBB6_935:
	s_trap 2
	s_sendmsg_rtn_b32 s0, sendmsg(MSG_RTN_GET_DOORBELL)
	s_mov_b32 ttmp2, m0
	s_waitcnt lgkmcnt(0)
	s_and_b32 s0, s0, 0x3ff
	s_delay_alu instid0(SALU_CYCLE_1) | instskip(NEXT) | instid1(SALU_CYCLE_1)
	s_bitset1_b32 s0, 10
	s_mov_b32 m0, s0
	s_sendmsg sendmsg(MSG_INTERRUPT)
	s_mov_b32 m0, ttmp2
.LBB6_936:                              ; =>This Inner Loop Header: Depth=1
	s_sethalt 5
	s_branch .LBB6_936
.LBB6_937:
	s_trap 2
	s_sendmsg_rtn_b32 s0, sendmsg(MSG_RTN_GET_DOORBELL)
	s_mov_b32 ttmp2, m0
	s_waitcnt lgkmcnt(0)
	s_and_b32 s0, s0, 0x3ff
	s_delay_alu instid0(SALU_CYCLE_1) | instskip(NEXT) | instid1(SALU_CYCLE_1)
	s_bitset1_b32 s0, 10
	s_mov_b32 m0, s0
	s_sendmsg sendmsg(MSG_INTERRUPT)
	s_mov_b32 m0, ttmp2
.LBB6_938:                              ; =>This Inner Loop Header: Depth=1
	s_sethalt 5
	s_branch .LBB6_938
.LBB6_939:
	s_trap 2
	s_sendmsg_rtn_b32 s0, sendmsg(MSG_RTN_GET_DOORBELL)
	s_mov_b32 ttmp2, m0
	s_waitcnt lgkmcnt(0)
	s_and_b32 s0, s0, 0x3ff
	s_delay_alu instid0(SALU_CYCLE_1) | instskip(NEXT) | instid1(SALU_CYCLE_1)
	s_bitset1_b32 s0, 10
	s_mov_b32 m0, s0
	s_sendmsg sendmsg(MSG_INTERRUPT)
	s_mov_b32 m0, ttmp2
.LBB6_940:                              ; =>This Inner Loop Header: Depth=1
	s_sethalt 5
	s_branch .LBB6_940
.LBB6_941:
	s_trap 2
	s_sendmsg_rtn_b32 s0, sendmsg(MSG_RTN_GET_DOORBELL)
	s_mov_b32 ttmp2, m0
	s_waitcnt lgkmcnt(0)
	s_and_b32 s0, s0, 0x3ff
	s_delay_alu instid0(SALU_CYCLE_1) | instskip(NEXT) | instid1(SALU_CYCLE_1)
	s_bitset1_b32 s0, 10
	s_mov_b32 m0, s0
	s_sendmsg sendmsg(MSG_INTERRUPT)
	s_mov_b32 m0, ttmp2
.LBB6_942:                              ; =>This Inner Loop Header: Depth=1
	s_sethalt 5
	s_branch .LBB6_942
.LBB6_943:
	s_trap 2
	s_sendmsg_rtn_b32 s0, sendmsg(MSG_RTN_GET_DOORBELL)
	s_mov_b32 ttmp2, m0
	s_waitcnt lgkmcnt(0)
	s_and_b32 s0, s0, 0x3ff
	s_delay_alu instid0(SALU_CYCLE_1) | instskip(NEXT) | instid1(SALU_CYCLE_1)
	s_bitset1_b32 s0, 10
	s_mov_b32 m0, s0
	s_sendmsg sendmsg(MSG_INTERRUPT)
	s_mov_b32 m0, ttmp2
.LBB6_944:                              ; =>This Inner Loop Header: Depth=1
	s_sethalt 5
	s_branch .LBB6_944
.LBB6_945:
	s_trap 2
	s_sendmsg_rtn_b32 s0, sendmsg(MSG_RTN_GET_DOORBELL)
	s_mov_b32 ttmp2, m0
	s_waitcnt lgkmcnt(0)
	s_and_b32 s0, s0, 0x3ff
	s_delay_alu instid0(SALU_CYCLE_1) | instskip(NEXT) | instid1(SALU_CYCLE_1)
	s_bitset1_b32 s0, 10
	s_mov_b32 m0, s0
	s_sendmsg sendmsg(MSG_INTERRUPT)
	s_mov_b32 m0, ttmp2
.LBB6_946:                              ; =>This Inner Loop Header: Depth=1
	s_sethalt 5
	s_branch .LBB6_946
.LBB6_947:
	s_trap 2
	s_sendmsg_rtn_b32 s0, sendmsg(MSG_RTN_GET_DOORBELL)
	s_mov_b32 ttmp2, m0
	s_waitcnt lgkmcnt(0)
	s_and_b32 s0, s0, 0x3ff
	s_delay_alu instid0(SALU_CYCLE_1) | instskip(NEXT) | instid1(SALU_CYCLE_1)
	s_bitset1_b32 s0, 10
	s_mov_b32 m0, s0
	s_sendmsg sendmsg(MSG_INTERRUPT)
	s_mov_b32 m0, ttmp2
.LBB6_948:                              ; =>This Inner Loop Header: Depth=1
	s_sethalt 5
	s_branch .LBB6_948
.LBB6_949:
	s_trap 2
	s_sendmsg_rtn_b32 s0, sendmsg(MSG_RTN_GET_DOORBELL)
	s_mov_b32 ttmp2, m0
	s_waitcnt lgkmcnt(0)
	s_and_b32 s0, s0, 0x3ff
	s_delay_alu instid0(SALU_CYCLE_1) | instskip(NEXT) | instid1(SALU_CYCLE_1)
	s_bitset1_b32 s0, 10
	s_mov_b32 m0, s0
	s_sendmsg sendmsg(MSG_INTERRUPT)
	s_mov_b32 m0, ttmp2
.LBB6_950:                              ; =>This Inner Loop Header: Depth=1
	s_sethalt 5
	s_branch .LBB6_950
.LBB6_951:
	s_trap 2
	s_sendmsg_rtn_b32 s0, sendmsg(MSG_RTN_GET_DOORBELL)
	s_mov_b32 ttmp2, m0
	s_waitcnt lgkmcnt(0)
	s_and_b32 s0, s0, 0x3ff
	s_delay_alu instid0(SALU_CYCLE_1) | instskip(NEXT) | instid1(SALU_CYCLE_1)
	s_bitset1_b32 s0, 10
	s_mov_b32 m0, s0
	s_sendmsg sendmsg(MSG_INTERRUPT)
	s_mov_b32 m0, ttmp2
.LBB6_952:                              ; =>This Inner Loop Header: Depth=1
	s_sethalt 5
	s_branch .LBB6_952
.LBB6_953:
	s_trap 2
	s_sendmsg_rtn_b32 s0, sendmsg(MSG_RTN_GET_DOORBELL)
	s_mov_b32 ttmp2, m0
	s_waitcnt lgkmcnt(0)
	s_and_b32 s0, s0, 0x3ff
	s_delay_alu instid0(SALU_CYCLE_1) | instskip(NEXT) | instid1(SALU_CYCLE_1)
	s_bitset1_b32 s0, 10
	s_mov_b32 m0, s0
	s_sendmsg sendmsg(MSG_INTERRUPT)
	s_mov_b32 m0, ttmp2
.LBB6_954:                              ; =>This Inner Loop Header: Depth=1
	s_sethalt 5
	s_branch .LBB6_954
.LBB6_955:
	s_trap 2
	s_sendmsg_rtn_b32 s0, sendmsg(MSG_RTN_GET_DOORBELL)
	s_mov_b32 ttmp2, m0
	s_waitcnt lgkmcnt(0)
	s_and_b32 s0, s0, 0x3ff
	s_delay_alu instid0(SALU_CYCLE_1) | instskip(NEXT) | instid1(SALU_CYCLE_1)
	s_bitset1_b32 s0, 10
	s_mov_b32 m0, s0
	s_sendmsg sendmsg(MSG_INTERRUPT)
	s_mov_b32 m0, ttmp2
.LBB6_956:                              ; =>This Inner Loop Header: Depth=1
	s_sethalt 5
	s_branch .LBB6_956
.LBB6_957:
	s_trap 2
	s_sendmsg_rtn_b32 s0, sendmsg(MSG_RTN_GET_DOORBELL)
	s_mov_b32 ttmp2, m0
	s_waitcnt lgkmcnt(0)
	s_and_b32 s0, s0, 0x3ff
	s_delay_alu instid0(SALU_CYCLE_1) | instskip(NEXT) | instid1(SALU_CYCLE_1)
	s_bitset1_b32 s0, 10
	s_mov_b32 m0, s0
	s_sendmsg sendmsg(MSG_INTERRUPT)
	s_mov_b32 m0, ttmp2
.LBB6_958:                              ; =>This Inner Loop Header: Depth=1
	s_sethalt 5
	s_branch .LBB6_958
.LBB6_959:
	s_trap 2
	s_sendmsg_rtn_b32 s0, sendmsg(MSG_RTN_GET_DOORBELL)
	s_mov_b32 ttmp2, m0
	s_waitcnt lgkmcnt(0)
	s_and_b32 s0, s0, 0x3ff
	s_delay_alu instid0(SALU_CYCLE_1) | instskip(NEXT) | instid1(SALU_CYCLE_1)
	s_bitset1_b32 s0, 10
	s_mov_b32 m0, s0
	s_sendmsg sendmsg(MSG_INTERRUPT)
	s_mov_b32 m0, ttmp2
.LBB6_960:                              ; =>This Inner Loop Header: Depth=1
	s_sethalt 5
	s_branch .LBB6_960
.LBB6_961:
	s_trap 2
	s_sendmsg_rtn_b32 s0, sendmsg(MSG_RTN_GET_DOORBELL)
	s_mov_b32 ttmp2, m0
	s_waitcnt lgkmcnt(0)
	s_and_b32 s0, s0, 0x3ff
	s_delay_alu instid0(SALU_CYCLE_1) | instskip(NEXT) | instid1(SALU_CYCLE_1)
	s_bitset1_b32 s0, 10
	s_mov_b32 m0, s0
	s_sendmsg sendmsg(MSG_INTERRUPT)
	s_mov_b32 m0, ttmp2
.LBB6_962:                              ; =>This Inner Loop Header: Depth=1
	s_sethalt 5
	s_branch .LBB6_962
.LBB6_963:
	s_trap 2
	s_sendmsg_rtn_b32 s0, sendmsg(MSG_RTN_GET_DOORBELL)
	s_mov_b32 ttmp2, m0
	s_waitcnt lgkmcnt(0)
	s_and_b32 s0, s0, 0x3ff
	s_delay_alu instid0(SALU_CYCLE_1) | instskip(NEXT) | instid1(SALU_CYCLE_1)
	s_bitset1_b32 s0, 10
	s_mov_b32 m0, s0
	s_sendmsg sendmsg(MSG_INTERRUPT)
	s_mov_b32 m0, ttmp2
.LBB6_964:                              ; =>This Inner Loop Header: Depth=1
	s_sethalt 5
	s_branch .LBB6_964
.LBB6_965:
	s_trap 2
	s_sendmsg_rtn_b32 s0, sendmsg(MSG_RTN_GET_DOORBELL)
	s_mov_b32 ttmp2, m0
	s_waitcnt lgkmcnt(0)
	s_and_b32 s0, s0, 0x3ff
	s_delay_alu instid0(SALU_CYCLE_1) | instskip(NEXT) | instid1(SALU_CYCLE_1)
	s_bitset1_b32 s0, 10
	s_mov_b32 m0, s0
	s_sendmsg sendmsg(MSG_INTERRUPT)
	s_mov_b32 m0, ttmp2
.LBB6_966:                              ; =>This Inner Loop Header: Depth=1
	s_sethalt 5
	s_branch .LBB6_966
.LBB6_967:
	s_trap 2
	s_sendmsg_rtn_b32 s0, sendmsg(MSG_RTN_GET_DOORBELL)
	s_mov_b32 ttmp2, m0
	s_waitcnt lgkmcnt(0)
	s_and_b32 s0, s0, 0x3ff
	s_delay_alu instid0(SALU_CYCLE_1) | instskip(NEXT) | instid1(SALU_CYCLE_1)
	s_bitset1_b32 s0, 10
	s_mov_b32 m0, s0
	s_sendmsg sendmsg(MSG_INTERRUPT)
	s_mov_b32 m0, ttmp2
.LBB6_968:                              ; =>This Inner Loop Header: Depth=1
	s_sethalt 5
	s_branch .LBB6_968
.LBB6_969:
	s_trap 2
	s_sendmsg_rtn_b32 s0, sendmsg(MSG_RTN_GET_DOORBELL)
	s_mov_b32 ttmp2, m0
	s_waitcnt lgkmcnt(0)
	s_and_b32 s0, s0, 0x3ff
	s_delay_alu instid0(SALU_CYCLE_1) | instskip(NEXT) | instid1(SALU_CYCLE_1)
	s_bitset1_b32 s0, 10
	s_mov_b32 m0, s0
	s_sendmsg sendmsg(MSG_INTERRUPT)
	s_mov_b32 m0, ttmp2
.LBB6_970:                              ; =>This Inner Loop Header: Depth=1
	s_sethalt 5
	s_branch .LBB6_970
.LBB6_971:
	s_trap 2
	s_sendmsg_rtn_b32 s0, sendmsg(MSG_RTN_GET_DOORBELL)
	s_mov_b32 ttmp2, m0
	s_waitcnt lgkmcnt(0)
	s_and_b32 s0, s0, 0x3ff
	s_delay_alu instid0(SALU_CYCLE_1) | instskip(NEXT) | instid1(SALU_CYCLE_1)
	s_bitset1_b32 s0, 10
	s_mov_b32 m0, s0
	s_sendmsg sendmsg(MSG_INTERRUPT)
	s_mov_b32 m0, ttmp2
.LBB6_972:                              ; =>This Inner Loop Header: Depth=1
	s_sethalt 5
	s_branch .LBB6_972
.LBB6_973:
	s_trap 2
	s_sendmsg_rtn_b32 s0, sendmsg(MSG_RTN_GET_DOORBELL)
	s_mov_b32 ttmp2, m0
	s_waitcnt lgkmcnt(0)
	s_and_b32 s0, s0, 0x3ff
	s_delay_alu instid0(SALU_CYCLE_1) | instskip(NEXT) | instid1(SALU_CYCLE_1)
	s_bitset1_b32 s0, 10
	s_mov_b32 m0, s0
	s_sendmsg sendmsg(MSG_INTERRUPT)
	s_mov_b32 m0, ttmp2
.LBB6_974:                              ; =>This Inner Loop Header: Depth=1
	s_sethalt 5
	s_branch .LBB6_974
.LBB6_975:
	s_trap 2
	s_sendmsg_rtn_b32 s0, sendmsg(MSG_RTN_GET_DOORBELL)
	s_mov_b32 ttmp2, m0
	s_waitcnt lgkmcnt(0)
	s_and_b32 s0, s0, 0x3ff
	s_delay_alu instid0(SALU_CYCLE_1) | instskip(NEXT) | instid1(SALU_CYCLE_1)
	s_bitset1_b32 s0, 10
	s_mov_b32 m0, s0
	s_sendmsg sendmsg(MSG_INTERRUPT)
	s_mov_b32 m0, ttmp2
.LBB6_976:                              ; =>This Inner Loop Header: Depth=1
	s_sethalt 5
	s_branch .LBB6_976
.LBB6_977:
	s_trap 2
	s_sendmsg_rtn_b32 s0, sendmsg(MSG_RTN_GET_DOORBELL)
	s_mov_b32 ttmp2, m0
	s_waitcnt lgkmcnt(0)
	s_and_b32 s0, s0, 0x3ff
	s_delay_alu instid0(SALU_CYCLE_1) | instskip(NEXT) | instid1(SALU_CYCLE_1)
	s_bitset1_b32 s0, 10
	s_mov_b32 m0, s0
	s_sendmsg sendmsg(MSG_INTERRUPT)
	s_mov_b32 m0, ttmp2
.LBB6_978:                              ; =>This Inner Loop Header: Depth=1
	s_sethalt 5
	s_branch .LBB6_978
.LBB6_979:
	s_trap 2
	s_sendmsg_rtn_b32 s0, sendmsg(MSG_RTN_GET_DOORBELL)
	s_mov_b32 ttmp2, m0
	s_waitcnt lgkmcnt(0)
	s_and_b32 s0, s0, 0x3ff
	s_delay_alu instid0(SALU_CYCLE_1) | instskip(NEXT) | instid1(SALU_CYCLE_1)
	s_bitset1_b32 s0, 10
	s_mov_b32 m0, s0
	s_sendmsg sendmsg(MSG_INTERRUPT)
	s_mov_b32 m0, ttmp2
.LBB6_980:                              ; =>This Inner Loop Header: Depth=1
	s_sethalt 5
	s_branch .LBB6_980
.LBB6_981:
	s_trap 2
	s_sendmsg_rtn_b32 s0, sendmsg(MSG_RTN_GET_DOORBELL)
	s_mov_b32 ttmp2, m0
	s_waitcnt lgkmcnt(0)
	s_and_b32 s0, s0, 0x3ff
	s_delay_alu instid0(SALU_CYCLE_1) | instskip(NEXT) | instid1(SALU_CYCLE_1)
	s_bitset1_b32 s0, 10
	s_mov_b32 m0, s0
	s_sendmsg sendmsg(MSG_INTERRUPT)
	s_mov_b32 m0, ttmp2
.LBB6_982:                              ; =>This Inner Loop Header: Depth=1
	s_sethalt 5
	s_branch .LBB6_982
.LBB6_983:
	s_trap 2
	s_sendmsg_rtn_b32 s0, sendmsg(MSG_RTN_GET_DOORBELL)
	s_mov_b32 ttmp2, m0
	s_waitcnt lgkmcnt(0)
	s_and_b32 s0, s0, 0x3ff
	s_delay_alu instid0(SALU_CYCLE_1) | instskip(NEXT) | instid1(SALU_CYCLE_1)
	s_bitset1_b32 s0, 10
	s_mov_b32 m0, s0
	s_sendmsg sendmsg(MSG_INTERRUPT)
	s_mov_b32 m0, ttmp2
.LBB6_984:                              ; =>This Inner Loop Header: Depth=1
	s_sethalt 5
	s_branch .LBB6_984
.Lfunc_end6:
	.size	_ZN12_GLOBAL__N_17runRingIa7FuncSumIaE11ProtoSimpleILi2ELi2ELi0ELi4ELi0ELi0EELi0ELi4ELi0EEEviiP15ncclDevWorkColl, .Lfunc_end6-_ZN12_GLOBAL__N_17runRingIa7FuncSumIaE11ProtoSimpleILi2ELi2ELi0ELi4ELi0ELi0EELi0ELi4ELi0EEEviiP15ncclDevWorkColl
                                        ; -- End function
	.section	.AMDGPU.csdata,"",@progbits
; Function info:
; codeLenInByte = 32904
; NumSgprs: 44
; NumVgprs: 184
; ScratchSize: 128
; MemoryBound: 0
	.text
	.p2align	2                               ; -- Begin function _Z50ncclDevFunc_AlltoAllPivot_RING_SIMPLE_Sum_i8_0_0_4v
	.type	_Z50ncclDevFunc_AlltoAllPivot_RING_SIMPLE_Sum_i8_0_0_4v,@function
_Z50ncclDevFunc_AlltoAllPivot_RING_SIMPLE_Sum_i8_0_0_4v: ; @_Z50ncclDevFunc_AlltoAllPivot_RING_SIMPLE_Sum_i8_0_0_4v
; %bb.0:
	s_waitcnt vmcnt(0) expcnt(0) lgkmcnt(0)
	s_mov_b32 s0, s33
	s_mov_b32 s33, s32
	s_or_saveexec_b32 s1, -1
	scratch_store_b32 off, v42, s33 offset:12 ; 4-byte Folded Spill
	s_mov_b32 exec_lo, s1
	v_writelane_b32 v42, s0, 16
	s_add_i32 s32, s32, 32
	s_clause 0x2
	scratch_store_b32 off, v40, s33 offset:8
	; meta instruction
	scratch_store_b32 off, v41, s33 offset:4
	; meta instruction
	scratch_store_b32 off, v59, s33
	v_writelane_b32 v42, s34, 0
	v_writelane_b32 v42, s35, 1
	;; [unrolled: 1-line block ×16, first 2 shown]
	s_cbranch_execnz .LBB7_13
; %bb.1:
	ds_load_b32 v0, v0
	s_waitcnt lgkmcnt(0)
	v_cmp_gt_i32_e32 vcc_lo, 1, v0
	s_cbranch_vccnz .LBB7_12
; %bb.2:
	v_and_b32_e32 v40, 0x3ff, v31
	s_mov_b32 s46, 0
	s_mov_b64 s[44:45], src_shared_base
.LBB7_3:                                ; =>This Inner Loop Header: Depth=1
	s_cbranch_execnz .LBB7_15
; %bb.4:                                ;   in Loop: Header=BB7_3 Depth=1
	ds_load_b32 v0, v0
	s_cmp_eq_u32 s46, 0
	s_cbranch_scc1 .LBB7_8
; %bb.5:                                ;   in Loop: Header=BB7_3 Depth=1
	s_cbranch_execnz .LBB7_19
; %bb.6:                                ;   in Loop: Header=BB7_3 Depth=1
	s_waitcnt lgkmcnt(0)
	ds_load_b32 v1, v0
	s_waitcnt lgkmcnt(0)
	v_xor_b32_e32 v1, v1, v0
	s_delay_alu instid0(VALU_DEP_1) | instskip(NEXT) | instid1(VALU_DEP_1)
	v_and_b32_e32 v1, 0xff0000, v1
	v_cmp_eq_u32_e32 vcc_lo, 0, v1
	s_cbranch_vccnz .LBB7_8
; %bb.7:                                ;   in Loop: Header=BB7_3 Depth=1
	s_waitcnt_vscnt null, 0x0
	s_barrier
	buffer_gl0_inv
	ds_load_b32 v0, v0
.LBB7_8:                                ;   in Loop: Header=BB7_3 Depth=1
	s_waitcnt lgkmcnt(0)
	v_lshrrev_b32_e32 v0, 11, v0
	s_mov_b32 s47, exec_lo
	s_delay_alu instid0(VALU_DEP_1) | instskip(NEXT) | instid1(VALU_DEP_1)
	v_and_b32_e32 v1, 0x1fe0, v0
	v_cmpx_lt_u32_e64 v40, v1
	s_cbranch_execz .LBB7_10
; %bb.9:                                ;   in Loop: Header=BB7_3 Depth=1
	v_dual_mov_b32 v41, v31 :: v_dual_mov_b32 v0, v40
	v_mov_b32_e32 v3, s45
	s_getpc_b64 s[0:1]
	s_add_u32 s0, s0, _ZN12_GLOBAL__N_17runRingIa7FuncSumIaE11ProtoSimpleILi2ELi2ELi0ELi4ELi0ELi0EELi0ELi4ELi0EEEviiP15ncclDevWorkColl@rel32@lo+4
	s_addc_u32 s1, s1, _ZN12_GLOBAL__N_17runRingIa7FuncSumIaE11ProtoSimpleILi2ELi2ELi0ELi4ELi0ELi0EELi0ELi4ELi0EEEviiP15ncclDevWorkColl@rel32@hi+12
	s_mov_b64 s[42:43], s[8:9]
	s_mov_b32 s44, s12
	s_swappc_b64 s[30:31], s[0:1]
	v_mov_b32_e32 v31, v41
	s_mov_b32 s12, s44
	s_mov_b64 s[8:9], s[42:43]
.LBB7_10:                               ;   in Loop: Header=BB7_3 Depth=1
	s_or_b32 exec_lo, exec_lo, s47
	s_cbranch_execnz .LBB7_17
; %bb.11:                               ;   in Loop: Header=BB7_3 Depth=1
	ds_load_b32 v0, v0
	s_add_i32 s46, s46, 1
	s_waitcnt lgkmcnt(0)
	v_cmp_lt_i32_e32 vcc_lo, s46, v0
	s_cbranch_vccnz .LBB7_3
.LBB7_12:
	s_clause 0x2
	scratch_load_b32 v59, off, s33
	scratch_load_b32 v41, off, s33 offset:4
	scratch_load_b32 v40, off, s33 offset:8
	v_readlane_b32 s30, v42, 14
	v_readlane_b32 s31, v42, 15
	;; [unrolled: 1-line block ×17, first 2 shown]
	s_or_saveexec_b32 s1, -1
	scratch_load_b32 v42, off, s33 offset:12 ; 4-byte Folded Reload
	s_mov_b32 exec_lo, s1
	s_addk_i32 s32, 0xffe0
	s_mov_b32 s33, s0
	s_waitcnt vmcnt(0)
	s_setpc_b64 s[30:31]
.LBB7_13:
	s_trap 2
	s_sendmsg_rtn_b32 s0, sendmsg(MSG_RTN_GET_DOORBELL)
	s_mov_b32 ttmp2, m0
	s_waitcnt lgkmcnt(0)
	s_and_b32 s0, s0, 0x3ff
	s_delay_alu instid0(SALU_CYCLE_1) | instskip(NEXT) | instid1(SALU_CYCLE_1)
	s_bitset1_b32 s0, 10
	s_mov_b32 m0, s0
	s_sendmsg sendmsg(MSG_INTERRUPT)
	s_mov_b32 m0, ttmp2
.LBB7_14:                               ; =>This Inner Loop Header: Depth=1
	s_sethalt 5
	s_branch .LBB7_14
.LBB7_15:
	s_trap 2
	s_sendmsg_rtn_b32 s0, sendmsg(MSG_RTN_GET_DOORBELL)
	s_mov_b32 ttmp2, m0
	s_waitcnt lgkmcnt(0)
	s_and_b32 s0, s0, 0x3ff
	s_delay_alu instid0(SALU_CYCLE_1) | instskip(NEXT) | instid1(SALU_CYCLE_1)
	s_bitset1_b32 s0, 10
	s_mov_b32 m0, s0
	s_sendmsg sendmsg(MSG_INTERRUPT)
	s_mov_b32 m0, ttmp2
.LBB7_16:                               ; =>This Inner Loop Header: Depth=1
	s_sethalt 5
	s_branch .LBB7_16
.LBB7_17:
	s_trap 2
	s_sendmsg_rtn_b32 s0, sendmsg(MSG_RTN_GET_DOORBELL)
	s_mov_b32 ttmp2, m0
	s_waitcnt lgkmcnt(0)
	s_and_b32 s0, s0, 0x3ff
	s_delay_alu instid0(SALU_CYCLE_1) | instskip(NEXT) | instid1(SALU_CYCLE_1)
	s_bitset1_b32 s0, 10
	s_mov_b32 m0, s0
	s_sendmsg sendmsg(MSG_INTERRUPT)
	s_mov_b32 m0, ttmp2
.LBB7_18:                               ; =>This Inner Loop Header: Depth=1
	s_sethalt 5
	s_branch .LBB7_18
.LBB7_19:
	s_trap 2
	s_sendmsg_rtn_b32 s0, sendmsg(MSG_RTN_GET_DOORBELL)
	s_mov_b32 ttmp2, m0
	s_waitcnt lgkmcnt(0)
	s_and_b32 s0, s0, 0x3ff
	s_delay_alu instid0(SALU_CYCLE_1) | instskip(NEXT) | instid1(SALU_CYCLE_1)
	s_bitset1_b32 s0, 10
	s_mov_b32 m0, s0
	s_sendmsg sendmsg(MSG_INTERRUPT)
	s_mov_b32 m0, ttmp2
.LBB7_20:                               ; =>This Inner Loop Header: Depth=1
	s_sethalt 5
	s_branch .LBB7_20
.Lfunc_end7:
	.size	_Z50ncclDevFunc_AlltoAllPivot_RING_SIMPLE_Sum_i8_0_0_4v, .Lfunc_end7-_Z50ncclDevFunc_AlltoAllPivot_RING_SIMPLE_Sum_i8_0_0_4v
                                        ; -- End function
	.section	.AMDGPU.csdata,"",@progbits
; Function info:
; codeLenInByte = 852
; NumSgprs: 50
; NumVgprs: 184
; ScratchSize: 160
; MemoryBound: 0
	.text
	.p2alignl 7, 3214868480
	.fill 96, 4, 3214868480
	.type	__const.__assert_fail.fmt,@object ; @__const.__assert_fail.fmt
	.section	.rodata.str1.16,"aMS",@progbits,1
	.p2align	4, 0x0
__const.__assert_fail.fmt:
	.asciz	"%s:%u: %s: Device-side assertion `%s' failed.\n"
	.size	__const.__assert_fail.fmt, 47

	.type	.str.1,@object                  ; @.str.1
	.section	.rodata.str1.1,"aMS",@progbits,1
.str.1:
	.asciz	"2*(nrecv+nsend) <= nthreads"
	.size	.str.1, 28

	.type	.str.2,@object                  ; @.str.2
.str.2:
	.asciz	"/root/src/amdgpu-assembly/repos/ROCm__rccl/hipify/src/device/prims_simple.h"
	.size	.str.2, 76

	.type	__PRETTY_FUNCTION__._ZN10PrimitivesIa7FuncSumIaE12FanSymmetricILi1EELi0E11ProtoSimpleILi2ELi2ELi0ELi1ELi0ELi0EELi0ELb0ELi0ELi0ELi0EEC2EiiPKiS8_PKvPvmhhhP15ncclDevWorkCollP14ncclDevWorkP2pii,@object ; @__PRETTY_FUNCTION__._ZN10PrimitivesIa7FuncSumIaE12FanSymmetricILi1EELi0E11ProtoSimpleILi2ELi2ELi0ELi1ELi0ELi0EELi0ELb0ELi0ELi0ELi0EEC2EiiPKiS8_PKvPvmhhhP15ncclDevWorkCollP14ncclDevWorkP2pii
__PRETTY_FUNCTION__._ZN10PrimitivesIa7FuncSumIaE12FanSymmetricILi1EELi0E11ProtoSimpleILi2ELi2ELi0ELi1ELi0ELi0EELi0ELb0ELi0ELi0ELi0EEC2EiiPKiS8_PKvPvmhhhP15ncclDevWorkCollP14ncclDevWorkP2pii:
	.asciz	"Primitives<signed char, FuncSum<signed char>, FanSymmetric<1>, 0, ProtoSimple<2, 2, 0, 1>, 0>::Primitives(int, int, const int *, const int *, const void *, void *, uint64_t, uint8_t, uint8_t, uint8_t, struct ncclDevWorkColl *, struct ncclDevWorkP2p *, int, int) [T = signed char, RedOp = FuncSum<signed char>, Fan = FanSymmetric<1>, Direct = 0, Proto = ProtoSimple<2, 2, 0, 1>, P2p = 0, isNetOffload = false, Metadata = 0, Pipeline = 0, useAcc = 0]"
	.size	__PRETTY_FUNCTION__._ZN10PrimitivesIa7FuncSumIaE12FanSymmetricILi1EELi0E11ProtoSimpleILi2ELi2ELi0ELi1ELi0ELi0EELi0ELb0ELi0ELi0ELi0EEC2EiiPKiS8_PKvPvmhhhP15ncclDevWorkCollP14ncclDevWorkP2pii, 449

	.type	__PRETTY_FUNCTION__._ZN10PrimitivesIa7FuncSumIaE12FanSymmetricILi1EELi0E11ProtoSimpleILi2ELi2ELi0ELi2ELi0ELi0EELi0ELb0ELi0ELi0ELi0EEC2EiiPKiS8_PKvPvmhhhP15ncclDevWorkCollP14ncclDevWorkP2pii,@object ; @__PRETTY_FUNCTION__._ZN10PrimitivesIa7FuncSumIaE12FanSymmetricILi1EELi0E11ProtoSimpleILi2ELi2ELi0ELi2ELi0ELi0EELi0ELb0ELi0ELi0ELi0EEC2EiiPKiS8_PKvPvmhhhP15ncclDevWorkCollP14ncclDevWorkP2pii
__PRETTY_FUNCTION__._ZN10PrimitivesIa7FuncSumIaE12FanSymmetricILi1EELi0E11ProtoSimpleILi2ELi2ELi0ELi2ELi0ELi0EELi0ELb0ELi0ELi0ELi0EEC2EiiPKiS8_PKvPvmhhhP15ncclDevWorkCollP14ncclDevWorkP2pii:
	.asciz	"Primitives<signed char, FuncSum<signed char>, FanSymmetric<1>, 0, ProtoSimple<2, 2, 0, 2>, 0>::Primitives(int, int, const int *, const int *, const void *, void *, uint64_t, uint8_t, uint8_t, uint8_t, struct ncclDevWorkColl *, struct ncclDevWorkP2p *, int, int) [T = signed char, RedOp = FuncSum<signed char>, Fan = FanSymmetric<1>, Direct = 0, Proto = ProtoSimple<2, 2, 0, 2>, P2p = 0, isNetOffload = false, Metadata = 0, Pipeline = 0, useAcc = 0]"
	.size	__PRETTY_FUNCTION__._ZN10PrimitivesIa7FuncSumIaE12FanSymmetricILi1EELi0E11ProtoSimpleILi2ELi2ELi0ELi2ELi0ELi0EELi0ELb0ELi0ELi0ELi0EEC2EiiPKiS8_PKvPvmhhhP15ncclDevWorkCollP14ncclDevWorkP2pii, 449

	.type	__PRETTY_FUNCTION__._ZN10PrimitivesIa7FuncSumIaE12FanSymmetricILi1EELi0E11ProtoSimpleILi2ELi2ELi0ELi4ELi0ELi0EELi0ELb0ELi0ELi0ELi0EEC2EiiPKiS8_PKvPvmhhhP15ncclDevWorkCollP14ncclDevWorkP2pii,@object ; @__PRETTY_FUNCTION__._ZN10PrimitivesIa7FuncSumIaE12FanSymmetricILi1EELi0E11ProtoSimpleILi2ELi2ELi0ELi4ELi0ELi0EELi0ELb0ELi0ELi0ELi0EEC2EiiPKiS8_PKvPvmhhhP15ncclDevWorkCollP14ncclDevWorkP2pii
__PRETTY_FUNCTION__._ZN10PrimitivesIa7FuncSumIaE12FanSymmetricILi1EELi0E11ProtoSimpleILi2ELi2ELi0ELi4ELi0ELi0EELi0ELb0ELi0ELi0ELi0EEC2EiiPKiS8_PKvPvmhhhP15ncclDevWorkCollP14ncclDevWorkP2pii:
	.asciz	"Primitives<signed char, FuncSum<signed char>, FanSymmetric<1>, 0, ProtoSimple<2, 2, 0, 4>, 0>::Primitives(int, int, const int *, const int *, const void *, void *, uint64_t, uint8_t, uint8_t, uint8_t, struct ncclDevWorkColl *, struct ncclDevWorkP2p *, int, int) [T = signed char, RedOp = FuncSum<signed char>, Fan = FanSymmetric<1>, Direct = 0, Proto = ProtoSimple<2, 2, 0, 4>, P2p = 0, isNetOffload = false, Metadata = 0, Pipeline = 0, useAcc = 0]"
	.size	__PRETTY_FUNCTION__._ZN10PrimitivesIa7FuncSumIaE12FanSymmetricILi1EELi0E11ProtoSimpleILi2ELi2ELi0ELi4ELi0ELi0EELi0ELb0ELi0ELi0ELi0EEC2EiiPKiS8_PKvPvmhhhP15ncclDevWorkCollP14ncclDevWorkP2pii, 449

	.type	__hip_cuid_912f66e32fad62c8,@object ; @__hip_cuid_912f66e32fad62c8
	.section	.bss,"aw",@nobits
	.globl	__hip_cuid_912f66e32fad62c8
__hip_cuid_912f66e32fad62c8:
	.byte	0                               ; 0x0
	.size	__hip_cuid_912f66e32fad62c8, 1

	.ident	"AMD clang version 19.0.0git (https://github.com/RadeonOpenCompute/llvm-project roc-6.4.0 25133 c7fe45cf4b819c5991fe208aaa96edf142730f1d)"
	.section	".note.GNU-stack","",@progbits
	.addrsig
	.addrsig_sym _Z50ncclDevFunc_AlltoAllPivot_RING_SIMPLE_Sum_i8_0_0_1v
	.addrsig_sym _Z50ncclDevFunc_AlltoAllPivot_RING_SIMPLE_Sum_i8_0_0_2v
	.addrsig_sym _Z50ncclDevFunc_AlltoAllPivot_RING_SIMPLE_Sum_i8_0_0_4v
	.addrsig_sym ncclShmem
	.addrsig_sym __hip_cuid_912f66e32fad62c8
	.amdgpu_metadata
---
amdhsa.kernels:  []
amdhsa.target:   amdgcn-amd-amdhsa--gfx1100
amdhsa.version:
  - 1
  - 2
...

	.end_amdgpu_metadata
